;; amdgpu-corpus repo=ROCm/rocFFT kind=compiled arch=gfx950 opt=O3
	.text
	.amdgcn_target "amdgcn-amd-amdhsa--gfx950"
	.amdhsa_code_object_version 6
	.protected	fft_rtc_fwd_len1734_factors_17_17_6_wgs_102_tpt_102_halfLds_dp_op_CI_CI_unitstride_sbrr_C2R_dirReg ; -- Begin function fft_rtc_fwd_len1734_factors_17_17_6_wgs_102_tpt_102_halfLds_dp_op_CI_CI_unitstride_sbrr_C2R_dirReg
	.globl	fft_rtc_fwd_len1734_factors_17_17_6_wgs_102_tpt_102_halfLds_dp_op_CI_CI_unitstride_sbrr_C2R_dirReg
	.p2align	8
	.type	fft_rtc_fwd_len1734_factors_17_17_6_wgs_102_tpt_102_halfLds_dp_op_CI_CI_unitstride_sbrr_C2R_dirReg,@function
fft_rtc_fwd_len1734_factors_17_17_6_wgs_102_tpt_102_halfLds_dp_op_CI_CI_unitstride_sbrr_C2R_dirReg: ; @fft_rtc_fwd_len1734_factors_17_17_6_wgs_102_tpt_102_halfLds_dp_op_CI_CI_unitstride_sbrr_C2R_dirReg
; %bb.0:
	s_load_dwordx4 s[4:7], s[0:1], 0x58
	s_load_dwordx4 s[8:11], s[0:1], 0x0
	;; [unrolled: 1-line block ×3, first 2 shown]
	v_mul_u32_u24_e32 v1, 0x283, v0
	v_add_u32_sdwa v6, s2, v1 dst_sel:DWORD dst_unused:UNUSED_PAD src0_sel:DWORD src1_sel:WORD_1
	v_mov_b32_e32 v4, 0
	s_waitcnt lgkmcnt(0)
	v_cmp_lt_u64_e64 s[2:3], s[10:11], 2
	v_mov_b32_e32 v7, v4
	s_and_b64 vcc, exec, s[2:3]
	v_mov_b64_e32 v[2:3], 0
	s_cbranch_vccnz .LBB0_8
; %bb.1:
	s_load_dwordx2 s[2:3], s[0:1], 0x10
	s_add_u32 s16, s14, 8
	s_addc_u32 s17, s15, 0
	s_add_u32 s18, s12, 8
	s_addc_u32 s19, s13, 0
	s_waitcnt lgkmcnt(0)
	s_add_u32 s20, s2, 8
	v_mov_b64_e32 v[2:3], 0
	s_addc_u32 s21, s3, 0
	s_mov_b64 s[22:23], 1
	v_mov_b64_e32 v[72:73], v[2:3]
.LBB0_2:                                ; =>This Inner Loop Header: Depth=1
	s_load_dwordx2 s[24:25], s[20:21], 0x0
                                        ; implicit-def: $vgpr76_vgpr77
	s_waitcnt lgkmcnt(0)
	v_or_b32_e32 v5, s25, v7
	v_cmp_ne_u64_e32 vcc, 0, v[4:5]
	s_and_saveexec_b64 s[2:3], vcc
	s_xor_b64 s[26:27], exec, s[2:3]
	s_cbranch_execz .LBB0_4
; %bb.3:                                ;   in Loop: Header=BB0_2 Depth=1
	v_cvt_f32_u32_e32 v1, s24
	v_cvt_f32_u32_e32 v5, s25
	s_sub_u32 s2, 0, s24
	s_subb_u32 s3, 0, s25
	v_fmac_f32_e32 v1, 0x4f800000, v5
	v_rcp_f32_e32 v1, v1
	s_nop 0
	v_mul_f32_e32 v1, 0x5f7ffffc, v1
	v_mul_f32_e32 v5, 0x2f800000, v1
	v_trunc_f32_e32 v5, v5
	v_fmac_f32_e32 v1, 0xcf800000, v5
	v_cvt_u32_f32_e32 v5, v5
	v_cvt_u32_f32_e32 v1, v1
	v_mul_lo_u32 v8, s2, v5
	v_mul_hi_u32 v10, s2, v1
	v_mul_lo_u32 v9, s3, v1
	v_add_u32_e32 v10, v10, v8
	v_mul_lo_u32 v12, s2, v1
	v_add_u32_e32 v13, v10, v9
	v_mul_hi_u32 v8, v1, v12
	v_mul_hi_u32 v11, v1, v13
	v_mul_lo_u32 v10, v1, v13
	v_mov_b32_e32 v9, v4
	v_lshl_add_u64 v[8:9], v[8:9], 0, v[10:11]
	v_mul_hi_u32 v11, v5, v12
	v_mul_lo_u32 v12, v5, v12
	v_add_co_u32_e32 v8, vcc, v8, v12
	v_mul_hi_u32 v10, v5, v13
	s_nop 0
	v_addc_co_u32_e32 v8, vcc, v9, v11, vcc
	v_mov_b32_e32 v9, v4
	s_nop 0
	v_addc_co_u32_e32 v11, vcc, 0, v10, vcc
	v_mul_lo_u32 v10, v5, v13
	v_lshl_add_u64 v[8:9], v[8:9], 0, v[10:11]
	v_add_co_u32_e32 v1, vcc, v1, v8
	v_mul_lo_u32 v10, s2, v1
	s_nop 0
	v_addc_co_u32_e32 v5, vcc, v5, v9, vcc
	v_mul_lo_u32 v8, s2, v5
	v_mul_hi_u32 v9, s2, v1
	v_add_u32_e32 v8, v9, v8
	v_mul_lo_u32 v9, s3, v1
	v_add_u32_e32 v12, v8, v9
	v_mul_hi_u32 v14, v5, v10
	v_mul_lo_u32 v15, v5, v10
	v_mul_hi_u32 v9, v1, v12
	v_mul_lo_u32 v8, v1, v12
	v_mul_hi_u32 v10, v1, v10
	v_mov_b32_e32 v11, v4
	v_lshl_add_u64 v[8:9], v[10:11], 0, v[8:9]
	v_add_co_u32_e32 v8, vcc, v8, v15
	v_mul_hi_u32 v13, v5, v12
	s_nop 0
	v_addc_co_u32_e32 v8, vcc, v9, v14, vcc
	v_mul_lo_u32 v10, v5, v12
	s_nop 0
	v_addc_co_u32_e32 v11, vcc, 0, v13, vcc
	v_mov_b32_e32 v9, v4
	v_lshl_add_u64 v[8:9], v[8:9], 0, v[10:11]
	v_add_co_u32_e32 v1, vcc, v1, v8
	v_mul_hi_u32 v10, v6, v1
	s_nop 0
	v_addc_co_u32_e32 v5, vcc, v5, v9, vcc
	v_mad_u64_u32 v[8:9], s[2:3], v6, v5, 0
	v_mov_b32_e32 v11, v4
	v_lshl_add_u64 v[8:9], v[10:11], 0, v[8:9]
	v_mad_u64_u32 v[12:13], s[2:3], v7, v1, 0
	v_add_co_u32_e32 v1, vcc, v8, v12
	v_mad_u64_u32 v[10:11], s[2:3], v7, v5, 0
	s_nop 0
	v_addc_co_u32_e32 v8, vcc, v9, v13, vcc
	v_mov_b32_e32 v9, v4
	s_nop 0
	v_addc_co_u32_e32 v11, vcc, 0, v11, vcc
	v_lshl_add_u64 v[8:9], v[8:9], 0, v[10:11]
	v_mul_lo_u32 v1, s25, v8
	v_mul_lo_u32 v5, s24, v9
	v_mad_u64_u32 v[10:11], s[2:3], s24, v8, 0
	v_add3_u32 v1, v11, v5, v1
	v_sub_u32_e32 v5, v7, v1
	v_mov_b32_e32 v11, s25
	v_sub_co_u32_e32 v14, vcc, v6, v10
	v_lshl_add_u64 v[12:13], v[8:9], 0, 1
	s_nop 0
	v_subb_co_u32_e64 v5, s[2:3], v5, v11, vcc
	v_subrev_co_u32_e64 v10, s[2:3], s24, v14
	v_subb_co_u32_e32 v1, vcc, v7, v1, vcc
	s_nop 0
	v_subbrev_co_u32_e64 v5, s[2:3], 0, v5, s[2:3]
	v_cmp_le_u32_e64 s[2:3], s25, v5
	v_cmp_le_u32_e32 vcc, s25, v1
	s_nop 0
	v_cndmask_b32_e64 v11, 0, -1, s[2:3]
	v_cmp_le_u32_e64 s[2:3], s24, v10
	s_nop 1
	v_cndmask_b32_e64 v10, 0, -1, s[2:3]
	v_cmp_eq_u32_e64 s[2:3], s25, v5
	s_nop 1
	v_cndmask_b32_e64 v5, v11, v10, s[2:3]
	v_lshl_add_u64 v[10:11], v[8:9], 0, 2
	v_cmp_ne_u32_e64 s[2:3], 0, v5
	s_nop 1
	v_cndmask_b32_e64 v5, v13, v11, s[2:3]
	v_cndmask_b32_e64 v11, 0, -1, vcc
	v_cmp_le_u32_e32 vcc, s24, v14
	s_nop 1
	v_cndmask_b32_e64 v13, 0, -1, vcc
	v_cmp_eq_u32_e32 vcc, s25, v1
	s_nop 1
	v_cndmask_b32_e32 v1, v11, v13, vcc
	v_cmp_ne_u32_e32 vcc, 0, v1
	v_cndmask_b32_e64 v1, v12, v10, s[2:3]
	s_nop 0
	v_cndmask_b32_e32 v77, v9, v5, vcc
	v_cndmask_b32_e32 v76, v8, v1, vcc
.LBB0_4:                                ;   in Loop: Header=BB0_2 Depth=1
	s_andn2_saveexec_b64 s[2:3], s[26:27]
	s_cbranch_execz .LBB0_6
; %bb.5:                                ;   in Loop: Header=BB0_2 Depth=1
	v_cvt_f32_u32_e32 v1, s24
	s_sub_i32 s26, 0, s24
	v_mov_b32_e32 v77, v4
	v_rcp_iflag_f32_e32 v1, v1
	s_nop 0
	v_mul_f32_e32 v1, 0x4f7ffffe, v1
	v_cvt_u32_f32_e32 v1, v1
	v_mul_lo_u32 v5, s26, v1
	v_mul_hi_u32 v5, v1, v5
	v_add_u32_e32 v1, v1, v5
	v_mul_hi_u32 v1, v6, v1
	v_mul_lo_u32 v5, v1, s24
	v_sub_u32_e32 v5, v6, v5
	v_add_u32_e32 v8, 1, v1
	v_subrev_u32_e32 v9, s24, v5
	v_cmp_le_u32_e32 vcc, s24, v5
	s_nop 1
	v_cndmask_b32_e32 v5, v5, v9, vcc
	v_cndmask_b32_e32 v1, v1, v8, vcc
	v_add_u32_e32 v8, 1, v1
	v_cmp_le_u32_e32 vcc, s24, v5
	s_nop 1
	v_cndmask_b32_e32 v76, v1, v8, vcc
.LBB0_6:                                ;   in Loop: Header=BB0_2 Depth=1
	s_or_b64 exec, exec, s[2:3]
	v_mad_u64_u32 v[8:9], s[2:3], v76, s24, 0
	s_load_dwordx2 s[2:3], s[18:19], 0x0
	v_mul_lo_u32 v1, v77, s24
	v_mul_lo_u32 v5, v76, s25
	s_load_dwordx2 s[24:25], s[16:17], 0x0
	s_add_u32 s22, s22, 1
	v_add3_u32 v1, v9, v5, v1
	v_sub_co_u32_e32 v5, vcc, v6, v8
	s_addc_u32 s23, s23, 0
	s_nop 0
	v_subb_co_u32_e32 v1, vcc, v7, v1, vcc
	s_add_u32 s16, s16, 8
	s_waitcnt lgkmcnt(0)
	v_mul_lo_u32 v6, s2, v1
	v_mul_lo_u32 v7, s3, v5
	v_mad_u64_u32 v[2:3], s[2:3], s2, v5, v[2:3]
	s_addc_u32 s17, s17, 0
	v_add3_u32 v3, v7, v3, v6
	v_mul_lo_u32 v1, s24, v1
	v_mul_lo_u32 v6, s25, v5
	v_mad_u64_u32 v[72:73], s[2:3], s24, v5, v[72:73]
	s_add_u32 s18, s18, 8
	v_add3_u32 v73, v6, v73, v1
	s_addc_u32 s19, s19, 0
	v_mov_b64_e32 v[6:7], s[10:11]
	s_add_u32 s20, s20, 8
	v_cmp_ge_u64_e32 vcc, s[22:23], v[6:7]
	s_addc_u32 s21, s21, 0
	s_cbranch_vccnz .LBB0_9
; %bb.7:                                ;   in Loop: Header=BB0_2 Depth=1
	v_mov_b64_e32 v[6:7], v[76:77]
	s_branch .LBB0_2
.LBB0_8:
	v_mov_b64_e32 v[72:73], v[2:3]
	v_mov_b64_e32 v[76:77], v[6:7]
.LBB0_9:
	s_load_dwordx2 s[2:3], s[0:1], 0x28
	s_lshl_b64 s[16:17], s[10:11], 3
	s_add_u32 s10, s14, s16
	s_addc_u32 s11, s15, s17
                                        ; implicit-def: $vgpr74
	s_waitcnt lgkmcnt(0)
	v_cmp_gt_u64_e64 s[0:1], s[2:3], v[76:77]
	v_cmp_le_u64_e32 vcc, s[2:3], v[76:77]
	s_and_saveexec_b64 s[2:3], vcc
	s_xor_b64 s[2:3], exec, s[2:3]
; %bb.10:
	s_mov_b32 s14, 0x2828283
	v_mul_hi_u32 v1, v0, s14
	v_mul_u32_u24_e32 v1, 0x66, v1
	v_sub_u32_e32 v74, v0, v1
                                        ; implicit-def: $vgpr0
                                        ; implicit-def: $vgpr2_vgpr3
; %bb.11:
	s_or_saveexec_b64 s[2:3], s[2:3]
	s_load_dwordx2 s[10:11], s[10:11], 0x0
	s_xor_b64 exec, exec, s[2:3]
	s_cbranch_execz .LBB0_15
; %bb.12:
	s_add_u32 s12, s12, s16
	s_addc_u32 s13, s13, s17
	s_load_dwordx2 s[12:13], s[12:13], 0x0
	s_mov_b32 s14, 0x2828283
	s_waitcnt lgkmcnt(0)
	v_mul_lo_u32 v1, s13, v76
	v_mul_lo_u32 v6, s12, v77
	v_mad_u64_u32 v[4:5], s[12:13], s12, v76, 0
	v_add3_u32 v5, v5, v6, v1
	v_mul_hi_u32 v1, v0, s14
	v_mul_u32_u24_e32 v1, 0x66, v1
	v_sub_u32_e32 v74, v0, v1
	v_lshl_add_u64 v[0:1], v[4:5], 4, s[4:5]
	v_lshl_add_u64 v[2:3], v[2:3], 4, v[0:1]
	v_lshlrev_b32_e32 v0, 4, v74
	v_mov_b32_e32 v1, 0
	v_lshl_add_u64 v[60:61], v[2:3], 0, v[0:1]
	s_movk_i32 s4, 0x1000
	v_add_co_u32_e32 v52, vcc, s4, v60
	s_movk_i32 s4, 0x2000
	s_nop 0
	v_addc_co_u32_e32 v53, vcc, 0, v61, vcc
	v_add_co_u32_e32 v54, vcc, s4, v60
	s_movk_i32 s5, 0x3000
	s_nop 0
	v_addc_co_u32_e32 v55, vcc, 0, v61, vcc
	;; [unrolled: 4-line block ×4, first 2 shown]
	v_add_co_u32_e32 v78, vcc, s13, v60
	global_load_dwordx4 v[4:7], v[60:61], off
	global_load_dwordx4 v[8:11], v[60:61], off offset:1632
	v_addc_co_u32_e32 v79, vcc, 0, v61, vcc
	v_add_co_u32_e32 v80, vcc, 0x6000, v60
	global_load_dwordx4 v[12:15], v[60:61], off offset:3264
	global_load_dwordx4 v[16:19], v[52:53], off offset:800
	global_load_dwordx4 v[20:23], v[52:53], off offset:2432
	global_load_dwordx4 v[24:27], v[52:53], off offset:4064
	global_load_dwordx4 v[28:31], v[54:55], off offset:1600
	global_load_dwordx4 v[32:35], v[54:55], off offset:3232
	global_load_dwordx4 v[36:39], v[56:57], off offset:768
	global_load_dwordx4 v[40:43], v[56:57], off offset:2400
	global_load_dwordx4 v[44:47], v[56:57], off offset:4032
	global_load_dwordx4 v[48:51], v[62:63], off offset:1568
	s_nop 0
	global_load_dwordx4 v[52:55], v[62:63], off offset:3200
	global_load_dwordx4 v[56:59], v[78:79], off offset:736
	v_addc_co_u32_e32 v81, vcc, 0, v61, vcc
	global_load_dwordx4 v[60:63], v[78:79], off offset:2368
	global_load_dwordx4 v[64:67], v[78:79], off offset:4000
	;; [unrolled: 1-line block ×3, first 2 shown]
	s_movk_i32 s4, 0x65
	v_add_u32_e32 v0, 0, v0
	v_cmp_eq_u32_e32 vcc, s4, v74
	s_waitcnt vmcnt(16)
	ds_write_b128 v0, v[4:7]
	s_waitcnt vmcnt(15)
	ds_write_b128 v0, v[8:11] offset:1632
	s_waitcnt vmcnt(14)
	ds_write_b128 v0, v[12:15] offset:3264
	;; [unrolled: 2-line block ×16, first 2 shown]
	s_and_saveexec_b64 s[4:5], vcc
	s_cbranch_execz .LBB0_14
; %bb.13:
	v_add_co_u32_e32 v2, vcc, 0x6000, v2
	v_mov_b32_e32 v74, 0x65
	s_nop 0
	v_addc_co_u32_e32 v3, vcc, 0, v3, vcc
	global_load_dwordx4 v[2:5], v[2:3], off offset:3168
	s_waitcnt vmcnt(0)
	ds_write_b128 v1, v[2:5] offset:27744
.LBB0_14:
	s_or_b64 exec, exec, s[4:5]
.LBB0_15:
	s_or_b64 exec, exec, s[2:3]
	v_lshlrev_b32_e32 v0, 4, v74
	v_add_u32_e32 v158, 0, v0
	s_waitcnt lgkmcnt(0)
	s_barrier
	v_sub_u32_e32 v18, 0, v0
	ds_read_b64 v[2:3], v158
	ds_read_b64 v[8:9], v18 offset:27744
	s_add_u32 s2, s8, 0x6b50
	s_addc_u32 s3, s9, 0
	v_cmp_ne_u32_e32 vcc, 0, v74
                                        ; implicit-def: $vgpr0_vgpr1
	s_waitcnt lgkmcnt(0)
	v_add_f64 v[4:5], v[2:3], v[8:9]
	v_add_f64 v[6:7], v[2:3], -v[8:9]
	s_and_saveexec_b64 s[4:5], vcc
	s_xor_b64 s[4:5], exec, s[4:5]
	s_cbranch_execz .LBB0_17
; %bb.16:
	v_mov_b32_e32 v75, 0
	v_lshl_add_u64 v[0:1], v[74:75], 4, s[2:3]
	global_load_dwordx4 v[10:13], v[0:1], off
	ds_read_b64 v[0:1], v18 offset:27752
	ds_read_b64 v[4:5], v158 offset:8
	v_add_f64 v[14:15], v[2:3], v[8:9]
	v_add_f64 v[8:9], v[2:3], -v[8:9]
	s_waitcnt lgkmcnt(0)
	v_add_f64 v[16:17], v[0:1], v[4:5]
	v_add_f64 v[2:3], v[4:5], -v[0:1]
	s_waitcnt vmcnt(0)
	v_fma_f64 v[6:7], v[16:17], v[12:13], v[2:3]
	v_fma_f64 v[0:1], -v[8:9], v[12:13], v[14:15]
	v_fma_f64 v[2:3], v[16:17], v[12:13], -v[2:3]
	v_fma_f64 v[4:5], v[8:9], v[12:13], v[14:15]
	v_fmac_f64_e32 v[0:1], v[16:17], v[10:11]
	v_fmac_f64_e32 v[2:3], v[8:9], v[10:11]
	v_fma_f64 v[4:5], -v[16:17], v[10:11], v[4:5]
	v_fmac_f64_e32 v[6:7], v[8:9], v[10:11]
	ds_write_b128 v18, v[0:3] offset:27744
	v_mov_b64_e32 v[0:1], v[74:75]
.LBB0_17:
	s_andn2_saveexec_b64 s[4:5], s[4:5]
	s_cbranch_execz .LBB0_19
; %bb.18:
	v_mov_b32_e32 v8, 0
	ds_read_b128 v[0:3], v8 offset:13872
	s_waitcnt lgkmcnt(0)
	v_add_f64 v[0:1], v[0:1], v[0:1]
	v_mul_f64 v[2:3], v[2:3], -2.0
	ds_write_b128 v8, v[0:3] offset:13872
	v_mov_b64_e32 v[0:1], 0
.LBB0_19:
	s_or_b64 exec, exec, s[4:5]
	v_lshl_add_u64 v[16:17], v[0:1], 4, s[2:3]
	global_load_dwordx4 v[0:3], v[16:17], off offset:1632
	global_load_dwordx4 v[12:15], v[16:17], off offset:3264
	s_movk_i32 s2, 0x1000
	v_add_co_u32_e32 v28, vcc, s2, v16
	s_movk_i32 s2, 0x2000
	s_nop 0
	v_addc_co_u32_e32 v29, vcc, 0, v17, vcc
	global_load_dwordx4 v[8:11], v[28:29], off offset:800
	global_load_dwordx4 v[20:23], v[28:29], off offset:2432
	ds_write_b128 v158, v[4:7]
	ds_read_b128 v[4:7], v158 offset:1632
	ds_read_b128 v[24:27], v18 offset:26112
	global_load_dwordx4 v[28:31], v[28:29], off offset:4064
	s_waitcnt lgkmcnt(0)
	v_add_f64 v[32:33], v[4:5], v[24:25]
	v_add_f64 v[34:35], v[26:27], v[6:7]
	v_add_f64 v[36:37], v[4:5], -v[24:25]
	v_add_f64 v[6:7], v[6:7], -v[26:27]
	s_waitcnt vmcnt(4)
	v_fma_f64 v[38:39], v[36:37], v[2:3], v[32:33]
	v_fma_f64 v[4:5], v[34:35], v[2:3], v[6:7]
	v_fma_f64 v[24:25], -v[36:37], v[2:3], v[32:33]
	v_fma_f64 v[26:27], v[34:35], v[2:3], -v[6:7]
	v_fma_f64 v[2:3], -v[34:35], v[0:1], v[38:39]
	v_fmac_f64_e32 v[4:5], v[36:37], v[0:1]
	v_add_co_u32_e32 v32, vcc, s2, v16
	v_fmac_f64_e32 v[24:25], v[34:35], v[0:1]
	v_fmac_f64_e32 v[26:27], v[36:37], v[0:1]
	ds_write_b128 v158, v[2:5] offset:1632
	ds_write_b128 v18, v[24:27] offset:26112
	v_addc_co_u32_e32 v33, vcc, 0, v17, vcc
	ds_read_b128 v[0:3], v158 offset:3264
	ds_read_b128 v[4:7], v18 offset:24480
	global_load_dwordx4 v[24:27], v[32:33], off offset:1600
	v_cmp_gt_u32_e32 vcc, 51, v74
	s_waitcnt lgkmcnt(0)
	v_add_f64 v[34:35], v[0:1], v[4:5]
	v_add_f64 v[36:37], v[6:7], v[2:3]
	v_add_f64 v[38:39], v[0:1], -v[4:5]
	v_add_f64 v[0:1], v[2:3], -v[6:7]
	s_waitcnt vmcnt(4)
	v_fma_f64 v[40:41], v[38:39], v[14:15], v[34:35]
	v_fma_f64 v[2:3], v[36:37], v[14:15], v[0:1]
	v_fma_f64 v[4:5], -v[38:39], v[14:15], v[34:35]
	v_fma_f64 v[6:7], v[36:37], v[14:15], -v[0:1]
	v_fma_f64 v[0:1], -v[36:37], v[12:13], v[40:41]
	v_fmac_f64_e32 v[2:3], v[38:39], v[12:13]
	v_fmac_f64_e32 v[4:5], v[36:37], v[12:13]
	;; [unrolled: 1-line block ×3, first 2 shown]
	ds_write_b128 v158, v[0:3] offset:3264
	ds_write_b128 v18, v[4:7] offset:24480
	ds_read_b128 v[0:3], v158 offset:4896
	ds_read_b128 v[4:7], v18 offset:22848
	global_load_dwordx4 v[12:15], v[32:33], off offset:3232
	s_waitcnt lgkmcnt(0)
	v_add_f64 v[32:33], v[0:1], v[4:5]
	v_add_f64 v[34:35], v[6:7], v[2:3]
	v_add_f64 v[36:37], v[0:1], -v[4:5]
	v_add_f64 v[0:1], v[2:3], -v[6:7]
	s_waitcnt vmcnt(4)
	v_fma_f64 v[38:39], v[36:37], v[10:11], v[32:33]
	v_fma_f64 v[2:3], v[34:35], v[10:11], v[0:1]
	v_fma_f64 v[4:5], -v[36:37], v[10:11], v[32:33]
	v_fma_f64 v[6:7], v[34:35], v[10:11], -v[0:1]
	v_fma_f64 v[0:1], -v[34:35], v[8:9], v[38:39]
	v_fmac_f64_e32 v[2:3], v[36:37], v[8:9]
	v_fmac_f64_e32 v[4:5], v[34:35], v[8:9]
	v_fmac_f64_e32 v[6:7], v[36:37], v[8:9]
	ds_write_b128 v158, v[0:3] offset:4896
	ds_write_b128 v18, v[4:7] offset:22848
	ds_read_b128 v[0:3], v158 offset:6528
	ds_read_b128 v[4:7], v18 offset:21216
	s_waitcnt lgkmcnt(0)
	v_add_f64 v[8:9], v[0:1], v[4:5]
	v_add_f64 v[10:11], v[6:7], v[2:3]
	v_add_f64 v[32:33], v[0:1], -v[4:5]
	v_add_f64 v[0:1], v[2:3], -v[6:7]
	s_waitcnt vmcnt(3)
	v_fma_f64 v[34:35], v[32:33], v[22:23], v[8:9]
	v_fma_f64 v[2:3], v[10:11], v[22:23], v[0:1]
	v_fma_f64 v[4:5], -v[32:33], v[22:23], v[8:9]
	v_fma_f64 v[6:7], v[10:11], v[22:23], -v[0:1]
	v_fma_f64 v[0:1], -v[10:11], v[20:21], v[34:35]
	v_fmac_f64_e32 v[2:3], v[32:33], v[20:21]
	v_fmac_f64_e32 v[4:5], v[10:11], v[20:21]
	v_fmac_f64_e32 v[6:7], v[32:33], v[20:21]
	ds_write_b128 v158, v[0:3] offset:6528
	ds_write_b128 v18, v[4:7] offset:21216
	ds_read_b128 v[0:3], v158 offset:8160
	ds_read_b128 v[4:7], v18 offset:19584
	;; [unrolled: 18-line block ×4, first 2 shown]
	s_waitcnt lgkmcnt(0)
	v_add_f64 v[8:9], v[0:1], v[4:5]
	v_add_f64 v[10:11], v[6:7], v[2:3]
	v_add_f64 v[20:21], v[0:1], -v[4:5]
	v_add_f64 v[0:1], v[2:3], -v[6:7]
	s_waitcnt vmcnt(0)
	v_fma_f64 v[22:23], v[20:21], v[14:15], v[8:9]
	v_fma_f64 v[2:3], v[10:11], v[14:15], v[0:1]
	v_fma_f64 v[4:5], -v[20:21], v[14:15], v[8:9]
	v_fma_f64 v[6:7], v[10:11], v[14:15], -v[0:1]
	v_fma_f64 v[0:1], -v[10:11], v[12:13], v[22:23]
	v_fmac_f64_e32 v[2:3], v[20:21], v[12:13]
	v_fmac_f64_e32 v[4:5], v[10:11], v[12:13]
	v_fmac_f64_e32 v[6:7], v[20:21], v[12:13]
	ds_write_b128 v158, v[0:3] offset:11424
	ds_write_b128 v18, v[4:7] offset:16320
	s_and_saveexec_b64 s[2:3], vcc
	s_cbranch_execz .LBB0_21
; %bb.20:
	s_movk_i32 s4, 0x3000
	v_add_co_u32_e32 v0, vcc, s4, v16
	s_nop 1
	v_addc_co_u32_e32 v1, vcc, 0, v17, vcc
	global_load_dwordx4 v[0:3], v[0:1], off offset:768
	ds_read_b128 v[4:7], v158 offset:13056
	ds_read_b128 v[8:11], v18 offset:14688
	s_waitcnt lgkmcnt(0)
	v_add_f64 v[12:13], v[4:5], v[8:9]
	v_add_f64 v[14:15], v[10:11], v[6:7]
	v_add_f64 v[16:17], v[4:5], -v[8:9]
	v_add_f64 v[8:9], v[6:7], -v[10:11]
	s_waitcnt vmcnt(0)
	v_fma_f64 v[10:11], v[16:17], v[2:3], v[12:13]
	v_fma_f64 v[4:5], v[14:15], v[2:3], v[8:9]
	v_fma_f64 v[6:7], -v[16:17], v[2:3], v[12:13]
	v_fma_f64 v[8:9], v[14:15], v[2:3], -v[8:9]
	v_fma_f64 v[2:3], -v[14:15], v[0:1], v[10:11]
	v_fmac_f64_e32 v[4:5], v[16:17], v[0:1]
	v_fmac_f64_e32 v[6:7], v[14:15], v[0:1]
	;; [unrolled: 1-line block ×3, first 2 shown]
	ds_write_b128 v158, v[2:5] offset:13056
	ds_write_b128 v18, v[6:9] offset:14688
.LBB0_21:
	s_or_b64 exec, exec, s[2:3]
	s_waitcnt lgkmcnt(0)
	s_barrier
	s_barrier
	ds_read_b128 v[4:7], v158
	ds_read_b128 v[60:63], v158 offset:1632
	ds_read_b128 v[52:55], v158 offset:3264
	;; [unrolled: 1-line block ×11, first 2 shown]
	s_waitcnt lgkmcnt(10)
	v_add_f64 v[2:3], v[6:7], v[62:63]
	v_add_f64 v[0:1], v[4:5], v[60:61]
	s_waitcnt lgkmcnt(9)
	v_add_f64 v[2:3], v[2:3], v[54:55]
	v_add_f64 v[0:1], v[0:1], v[52:53]
	s_waitcnt lgkmcnt(8)
	v_add_f64 v[2:3], v[2:3], v[46:47]
	v_add_f64 v[0:1], v[0:1], v[44:45]
	s_waitcnt lgkmcnt(7)
	v_add_f64 v[2:3], v[2:3], v[38:39]
	v_add_f64 v[0:1], v[0:1], v[36:37]
	s_waitcnt lgkmcnt(6)
	v_add_f64 v[2:3], v[2:3], v[34:35]
	v_add_f64 v[0:1], v[0:1], v[32:33]
	s_waitcnt lgkmcnt(5)
	v_add_f64 v[2:3], v[2:3], v[26:27]
	v_add_f64 v[0:1], v[0:1], v[24:25]
	s_waitcnt lgkmcnt(4)
	v_add_f64 v[2:3], v[2:3], v[18:19]
	ds_read_b128 v[40:43], v158 offset:19584
	ds_read_b128 v[48:51], v158 offset:21216
	v_add_f64 v[0:1], v[0:1], v[16:17]
	s_waitcnt lgkmcnt(5)
	v_add_f64 v[2:3], v[2:3], v[10:11]
	v_add_f64 v[0:1], v[0:1], v[8:9]
	s_waitcnt lgkmcnt(4)
	v_add_f64 v[2:3], v[2:3], v[14:15]
	ds_read_b128 v[56:59], v158 offset:22848
	ds_read_b128 v[64:67], v158 offset:24480
	;; [unrolled: 1-line block ×3, first 2 shown]
	v_add_f64 v[0:1], v[0:1], v[12:13]
	s_waitcnt lgkmcnt(6)
	v_add_f64 v[2:3], v[2:3], v[22:23]
	v_add_f64 v[0:1], v[0:1], v[20:21]
	s_waitcnt lgkmcnt(5)
	v_add_f64 v[2:3], v[2:3], v[30:31]
	;; [unrolled: 3-line block ×4, first 2 shown]
	s_mov_b32 s30, 0x5d8e7cdc
	s_mov_b32 s38, 0x2a9d6da3
	;; [unrolled: 1-line block ×8, first 2 shown]
	v_add_f64 v[0:1], v[0:1], v[48:49]
	s_waitcnt lgkmcnt(2)
	v_add_f64 v[2:3], v[2:3], v[58:59]
	s_waitcnt lgkmcnt(0)
	v_add_f64 v[104:105], v[62:63], -v[70:71]
	s_mov_b32 s31, 0xbfd71e95
	s_mov_b32 s14, 0x370991
	;; [unrolled: 1-line block ×16, first 2 shown]
	v_add_f64 v[0:1], v[0:1], v[56:57]
	v_add_f64 v[2:3], v[2:3], v[66:67]
	v_add_f64 v[98:99], v[60:61], v[68:69]
	v_add_f64 v[96:97], v[60:61], -v[68:69]
	v_add_f64 v[84:85], v[24:25], v[28:29]
	v_add_f64 v[86:87], v[24:25], -v[28:29]
	v_add_f64 v[92:93], v[16:17], v[20:21]
	v_add_f64 v[100:101], v[16:17], -v[20:21]
	v_add_f64 v[108:109], v[8:9], v[12:13]
	v_add_f64 v[110:111], v[8:9], -v[12:13]
	s_mov_b32 s15, 0x3fedd6d0
	v_mul_f64 v[8:9], v[104:105], s[30:31]
	s_mov_b32 s13, 0x3fe7a5f6
	v_mul_f64 v[12:13], v[104:105], s[38:39]
	;; [unrolled: 2-line block ×7, first 2 shown]
	v_mul_f64 v[132:133], v[104:105], s[36:37]
	s_mov_b32 s29, 0xbfef7484
	v_add_f64 v[0:1], v[0:1], v[64:65]
	v_add_f64 v[2:3], v[2:3], v[70:71]
	;; [unrolled: 1-line block ×4, first 2 shown]
	v_add_f64 v[52:53], v[52:53], -v[64:65]
	v_add_f64 v[64:65], v[46:47], v[58:59]
	v_add_f64 v[46:47], v[46:47], -v[58:59]
	v_add_f64 v[58:59], v[36:37], v[48:49]
	;; [unrolled: 2-line block ×6, first 2 shown]
	v_add_f64 v[112:113], v[10:11], -v[14:15]
	v_fma_f64 v[10:11], v[98:99], s[14:15], -v[8:9]
	v_fmac_f64_e32 v[8:9], s[14:15], v[98:99]
	v_fma_f64 v[14:15], v[98:99], s[12:13], -v[12:13]
	v_fmac_f64_e32 v[12:13], s[12:13], v[98:99]
	;; [unrolled: 2-line block ×8, first 2 shown]
	v_mul_f64 v[28:29], v[96:97], s[30:31]
	v_mul_f64 v[32:33], v[96:97], s[38:39]
	;; [unrolled: 1-line block ×6, first 2 shown]
	v_add_f64 v[0:1], v[0:1], v[68:69]
	v_add_f64 v[60:61], v[54:55], v[66:67]
	v_add_f64 v[54:55], v[54:55], -v[66:67]
	v_add_f64 v[66:67], v[44:45], v[56:57]
	v_add_f64 v[44:45], v[44:45], -v[56:57]
	;; [unrolled: 2-line block ×4, first 2 shown]
	v_fma_f64 v[30:31], s[14:15], v[94:95], v[28:29]
	v_fma_f64 v[28:29], v[94:95], s[14:15], -v[28:29]
	v_fma_f64 v[34:35], s[12:13], v[94:95], v[32:33]
	v_fma_f64 v[32:33], v[94:95], s[12:13], -v[32:33]
	v_fma_f64 v[38:39], s[4:5], v[94:95], v[36:37]
	v_fma_f64 v[42:43], s[2:3], v[94:95], v[40:41]
	v_fma_f64 v[40:41], v[94:95], s[2:3], -v[40:41]
	v_fma_f64 v[120:121], s[16:17], v[94:95], v[98:99]
	v_fma_f64 v[124:125], s[18:19], v[94:95], v[122:123]
	v_mul_f64 v[126:127], v[96:97], s[26:27]
	v_mul_f64 v[96:97], v[96:97], s[36:37]
	v_fma_f64 v[36:37], v[94:95], s[4:5], -v[36:37]
	v_fma_f64 v[98:99], v[94:95], s[16:17], -v[98:99]
	;; [unrolled: 1-line block ×3, first 2 shown]
	v_fma_f64 v[134:135], s[20:21], v[94:95], v[126:127]
	v_fma_f64 v[136:137], v[94:95], s[20:21], -v[126:127]
	v_fma_f64 v[138:139], s[28:29], v[94:95], v[96:97]
	v_fma_f64 v[94:95], v[94:95], s[28:29], -v[96:97]
	v_add_f64 v[10:11], v[4:5], v[10:11]
	v_add_f64 v[140:141], v[6:7], v[30:31]
	v_add_f64 v[142:143], v[4:5], v[8:9]
	v_add_f64 v[144:145], v[6:7], v[28:29]
	v_add_f64 v[14:15], v[4:5], v[14:15]
	v_add_f64 v[146:147], v[6:7], v[34:35]
	v_add_f64 v[12:13], v[4:5], v[12:13]
	v_add_f64 v[148:149], v[6:7], v[32:33]
	v_add_f64 v[150:151], v[4:5], v[18:19]
	v_add_f64 v[152:153], v[6:7], v[38:39]
	v_add_f64 v[154:155], v[4:5], v[16:17]
	v_add_f64 v[34:35], v[4:5], v[22:23]
	v_add_f64 v[32:33], v[6:7], v[42:43]
	v_add_f64 v[30:31], v[4:5], v[20:21]
	v_add_f64 v[28:29], v[6:7], v[40:41]
	v_add_f64 v[42:43], v[4:5], v[26:27]
	v_add_f64 v[40:41], v[6:7], v[120:121]
	v_add_f64 v[38:39], v[4:5], v[24:25]
	v_add_f64 v[128:129], v[4:5], v[116:117]
	v_add_f64 v[126:127], v[6:7], v[124:125]
	v_add_f64 v[124:125], v[4:5], v[114:115]
	v_add_f64 v[120:121], v[4:5], v[118:119]
	v_add_f64 v[116:117], v[4:5], v[130:131]
	v_add_f64 v[104:105], v[4:5], v[104:105]
	v_add_f64 v[96:97], v[4:5], v[132:133]
	v_mul_f64 v[4:5], v[54:55], s[38:39]
	v_add_f64 v[156:157], v[6:7], v[36:37]
	v_add_f64 v[36:37], v[6:7], v[98:99]
	;; [unrolled: 1-line block ×7, first 2 shown]
	v_fma_f64 v[6:7], v[62:63], s[12:13], -v[4:5]
	v_mul_f64 v[16:17], v[52:53], s[38:39]
	v_mul_f64 v[18:19], v[46:47], s[44:45]
	v_add_f64 v[6:7], v[6:7], v[10:11]
	v_fma_f64 v[8:9], s[12:13], v[60:61], v[16:17]
	v_fma_f64 v[10:11], v[66:67], s[4:5], -v[18:19]
	v_mul_f64 v[20:21], v[44:45], s[44:45]
	v_add_f64 v[8:9], v[8:9], v[140:141]
	v_add_f64 v[6:7], v[10:11], v[6:7]
	v_fma_f64 v[10:11], s[4:5], v[64:65], v[20:21]
	v_mul_f64 v[22:23], v[50:51], s[34:35]
	v_add_f64 v[8:9], v[10:11], v[8:9]
	v_fma_f64 v[10:11], v[58:59], s[2:3], -v[22:23]
	v_mul_f64 v[24:25], v[48:49], s[34:35]
	v_add_f64 v[6:7], v[10:11], v[6:7]
	v_fma_f64 v[10:11], s[2:3], v[56:57], v[24:25]
	v_mul_f64 v[26:27], v[80:81], s[22:23]
	v_add_f64 v[8:9], v[10:11], v[8:9]
	v_fma_f64 v[10:11], v[70:71], s[16:17], -v[26:27]
	v_mul_f64 v[130:131], v[78:79], s[22:23]
	v_add_f64 v[6:7], v[10:11], v[6:7]
	v_fma_f64 v[10:11], s[16:17], v[68:69], v[130:131]
	v_mul_f64 v[132:133], v[88:89], s[24:25]
	v_fmac_f64_e32 v[4:5], s[12:13], v[62:63]
	v_add_f64 v[8:9], v[10:11], v[8:9]
	v_fma_f64 v[10:11], v[84:85], s[18:19], -v[132:133]
	v_mul_f64 v[134:135], v[86:87], s[24:25]
	v_add_f64 v[4:5], v[4:5], v[142:143]
	v_fma_f64 v[16:17], v[60:61], s[12:13], -v[16:17]
	v_fmac_f64_e32 v[18:19], s[4:5], v[66:67]
	v_add_f64 v[6:7], v[10:11], v[6:7]
	v_fma_f64 v[10:11], s[18:19], v[82:83], v[134:135]
	v_mul_f64 v[136:137], v[102:103], s[26:27]
	v_add_f64 v[16:17], v[16:17], v[144:145]
	v_add_f64 v[4:5], v[18:19], v[4:5]
	v_fma_f64 v[18:19], v[64:65], s[4:5], -v[20:21]
	v_add_f64 v[8:9], v[10:11], v[8:9]
	v_fma_f64 v[10:11], v[92:93], s[20:21], -v[136:137]
	v_mul_f64 v[138:139], v[100:101], s[26:27]
	v_add_f64 v[16:17], v[18:19], v[16:17]
	v_fma_f64 v[18:19], v[56:57], s[2:3], -v[24:25]
	v_add_f64 v[6:7], v[10:11], v[6:7]
	v_fma_f64 v[10:11], s[20:21], v[90:91], v[138:139]
	v_mul_f64 v[140:141], v[112:113], s[36:37]
	v_add_f64 v[16:17], v[18:19], v[16:17]
	v_fma_f64 v[18:19], v[68:69], s[16:17], -v[130:131]
	v_add_f64 v[10:11], v[10:11], v[8:9]
	v_fma_f64 v[8:9], v[108:109], s[28:29], -v[140:141]
	;; [unrolled: 2-line block ×3, first 2 shown]
	v_add_f64 v[8:9], v[8:9], v[6:7]
	v_mul_f64 v[6:7], v[110:111], s[36:37]
	v_add_f64 v[16:17], v[18:19], v[16:17]
	v_fma_f64 v[18:19], v[90:91], s[20:21], -v[138:139]
	v_fma_f64 v[160:161], s[28:29], v[106:107], v[6:7]
	v_fmac_f64_e32 v[22:23], s[2:3], v[58:59]
	v_add_f64 v[16:17], v[18:19], v[16:17]
	v_fma_f64 v[6:7], v[106:107], s[28:29], -v[6:7]
	v_mul_f64 v[20:21], v[54:55], s[34:35]
	v_add_f64 v[4:5], v[22:23], v[4:5]
	v_fmac_f64_e32 v[26:27], s[16:17], v[70:71]
	v_add_f64 v[6:7], v[6:7], v[16:17]
	v_fma_f64 v[16:17], v[62:63], s[2:3], -v[20:21]
	v_mul_f64 v[22:23], v[52:53], s[34:35]
	v_mul_f64 v[24:25], v[46:47], s[24:25]
	v_add_f64 v[4:5], v[26:27], v[4:5]
	v_add_f64 v[14:15], v[16:17], v[14:15]
	v_fma_f64 v[16:17], s[2:3], v[60:61], v[22:23]
	v_fma_f64 v[18:19], v[66:67], s[18:19], -v[24:25]
	v_mul_f64 v[26:27], v[44:45], s[24:25]
	v_fmac_f64_e32 v[132:133], s[18:19], v[84:85]
	v_add_f64 v[16:17], v[16:17], v[146:147]
	v_add_f64 v[14:15], v[18:19], v[14:15]
	v_fma_f64 v[18:19], s[18:19], v[64:65], v[26:27]
	v_mul_f64 v[130:131], v[50:51], s[36:37]
	v_add_f64 v[4:5], v[132:133], v[4:5]
	v_add_f64 v[16:17], v[18:19], v[16:17]
	v_fma_f64 v[18:19], v[58:59], s[28:29], -v[130:131]
	v_mul_f64 v[132:133], v[48:49], s[36:37]
	s_mov_b32 s53, 0x3fe0d888
	s_mov_b32 s52, s26
	v_fmac_f64_e32 v[136:137], s[20:21], v[92:93]
	v_add_f64 v[14:15], v[18:19], v[14:15]
	v_fma_f64 v[18:19], s[28:29], v[56:57], v[132:133]
	v_mul_f64 v[134:135], v[80:81], s[52:53]
	v_add_f64 v[4:5], v[136:137], v[4:5]
	v_add_f64 v[16:17], v[18:19], v[16:17]
	v_fma_f64 v[18:19], v[70:71], s[20:21], -v[134:135]
	v_mul_f64 v[136:137], v[78:79], s[52:53]
	s_mov_b32 s49, 0x3feec746
	s_mov_b32 s48, s22
	v_fmac_f64_e32 v[140:141], s[28:29], v[108:109]
	v_add_f64 v[14:15], v[18:19], v[14:15]
	v_fma_f64 v[18:19], s[20:21], v[68:69], v[136:137]
	v_mul_f64 v[138:139], v[88:89], s[48:49]
	v_fmac_f64_e32 v[20:21], s[2:3], v[62:63]
	v_add_f64 v[4:5], v[140:141], v[4:5]
	v_add_f64 v[16:17], v[18:19], v[16:17]
	v_fma_f64 v[18:19], v[84:85], s[16:17], -v[138:139]
	v_mul_f64 v[140:141], v[86:87], s[48:49]
	s_mov_b32 s41, 0x3feca52d
	s_mov_b32 s40, s44
	v_add_f64 v[12:13], v[20:21], v[12:13]
	v_fma_f64 v[20:21], v[60:61], s[2:3], -v[22:23]
	v_add_f64 v[14:15], v[18:19], v[14:15]
	v_fma_f64 v[18:19], s[16:17], v[82:83], v[140:141]
	v_mul_f64 v[142:143], v[102:103], s[40:41]
	v_add_f64 v[20:21], v[20:21], v[148:149]
	v_fma_f64 v[22:23], v[64:65], s[18:19], -v[26:27]
	v_add_f64 v[16:17], v[18:19], v[16:17]
	v_fma_f64 v[18:19], v[92:93], s[4:5], -v[142:143]
	v_mul_f64 v[144:145], v[100:101], s[40:41]
	s_mov_b32 s43, 0x3fd71e95
	s_mov_b32 s42, s30
	v_add_f64 v[20:21], v[22:23], v[20:21]
	v_fma_f64 v[22:23], v[56:57], s[28:29], -v[132:133]
	v_add_f64 v[14:15], v[18:19], v[14:15]
	v_fma_f64 v[18:19], s[4:5], v[90:91], v[144:145]
	v_mul_f64 v[146:147], v[112:113], s[42:43]
	v_add_f64 v[20:21], v[22:23], v[20:21]
	v_fma_f64 v[22:23], v[68:69], s[20:21], -v[136:137]
	v_add_f64 v[18:19], v[18:19], v[16:17]
	v_fma_f64 v[16:17], v[108:109], s[14:15], -v[146:147]
	;; [unrolled: 2-line block ×3, first 2 shown]
	v_add_f64 v[16:17], v[16:17], v[14:15]
	v_mul_f64 v[14:15], v[110:111], s[42:43]
	v_add_f64 v[20:21], v[22:23], v[20:21]
	v_fma_f64 v[22:23], v[90:91], s[4:5], -v[144:145]
	v_add_f64 v[10:11], v[160:161], v[10:11]
	v_fma_f64 v[160:161], s[14:15], v[106:107], v[14:15]
	v_fmac_f64_e32 v[24:25], s[18:19], v[66:67]
	v_add_f64 v[20:21], v[22:23], v[20:21]
	v_fma_f64 v[14:15], v[106:107], s[14:15], -v[14:15]
	v_add_f64 v[12:13], v[24:25], v[12:13]
	v_fmac_f64_e32 v[130:131], s[28:29], v[58:59]
	v_add_f64 v[14:15], v[14:15], v[20:21]
	v_mul_f64 v[20:21], v[54:55], s[24:25]
	s_mov_b32 s57, 0x3fc7851a
	s_mov_b32 s56, s36
	v_add_f64 v[12:13], v[130:131], v[12:13]
	v_fmac_f64_e32 v[134:135], s[20:21], v[70:71]
	v_fma_f64 v[22:23], v[62:63], s[18:19], -v[20:21]
	v_mul_f64 v[130:131], v[52:53], s[24:25]
	v_mul_f64 v[132:133], v[46:47], s[56:57]
	v_add_f64 v[12:13], v[134:135], v[12:13]
	v_add_f64 v[22:23], v[22:23], v[150:151]
	v_fma_f64 v[24:25], s[18:19], v[60:61], v[130:131]
	v_fma_f64 v[26:27], v[66:67], s[28:29], -v[132:133]
	v_mul_f64 v[134:135], v[44:45], s[56:57]
	v_fmac_f64_e32 v[138:139], s[16:17], v[84:85]
	v_add_f64 v[24:25], v[24:25], v[152:153]
	v_add_f64 v[22:23], v[26:27], v[22:23]
	v_fma_f64 v[26:27], s[28:29], v[64:65], v[134:135]
	v_mul_f64 v[136:137], v[50:51], s[48:49]
	v_add_f64 v[12:13], v[138:139], v[12:13]
	v_add_f64 v[24:25], v[26:27], v[24:25]
	v_fma_f64 v[26:27], v[58:59], s[16:17], -v[136:137]
	v_mul_f64 v[138:139], v[48:49], s[48:49]
	s_mov_b32 s47, 0x3fe58eea
	s_mov_b32 s46, s38
	v_fmac_f64_e32 v[142:143], s[4:5], v[92:93]
	v_add_f64 v[22:23], v[26:27], v[22:23]
	v_fma_f64 v[26:27], s[16:17], v[56:57], v[138:139]
	v_mul_f64 v[140:141], v[80:81], s[46:47]
	v_add_f64 v[12:13], v[142:143], v[12:13]
	v_add_f64 v[24:25], v[26:27], v[24:25]
	v_fma_f64 v[26:27], v[70:71], s[12:13], -v[140:141]
	v_mul_f64 v[142:143], v[78:79], s[46:47]
	v_fmac_f64_e32 v[146:147], s[14:15], v[108:109]
	v_add_f64 v[22:23], v[26:27], v[22:23]
	v_fma_f64 v[26:27], s[12:13], v[68:69], v[142:143]
	v_mul_f64 v[144:145], v[88:89], s[30:31]
	v_fmac_f64_e32 v[20:21], s[18:19], v[62:63]
	v_add_f64 v[12:13], v[146:147], v[12:13]
	v_add_f64 v[24:25], v[26:27], v[24:25]
	v_fma_f64 v[26:27], v[84:85], s[14:15], -v[144:145]
	v_mul_f64 v[146:147], v[86:87], s[30:31]
	v_add_f64 v[20:21], v[20:21], v[154:155]
	v_fma_f64 v[130:131], v[60:61], s[18:19], -v[130:131]
	v_fmac_f64_e32 v[132:133], s[28:29], v[66:67]
	v_add_f64 v[22:23], v[26:27], v[22:23]
	v_fma_f64 v[26:27], s[14:15], v[82:83], v[146:147]
	v_mul_f64 v[148:149], v[102:103], s[34:35]
	v_add_f64 v[130:131], v[130:131], v[156:157]
	v_add_f64 v[20:21], v[132:133], v[20:21]
	v_fma_f64 v[132:133], v[64:65], s[28:29], -v[134:135]
	v_add_f64 v[24:25], v[26:27], v[24:25]
	v_fma_f64 v[26:27], v[92:93], s[2:3], -v[148:149]
	v_mul_f64 v[150:151], v[100:101], s[34:35]
	v_add_f64 v[130:131], v[132:133], v[130:131]
	v_fma_f64 v[132:133], v[56:57], s[16:17], -v[138:139]
	v_add_f64 v[22:23], v[26:27], v[22:23]
	v_fma_f64 v[26:27], s[2:3], v[90:91], v[150:151]
	v_mul_f64 v[152:153], v[112:113], s[26:27]
	v_add_f64 v[130:131], v[132:133], v[130:131]
	v_fma_f64 v[132:133], v[68:69], s[12:13], -v[142:143]
	v_add_f64 v[26:27], v[26:27], v[24:25]
	v_fma_f64 v[24:25], v[108:109], s[20:21], -v[152:153]
	;; [unrolled: 2-line block ×3, first 2 shown]
	v_add_f64 v[24:25], v[24:25], v[22:23]
	v_mul_f64 v[22:23], v[110:111], s[26:27]
	v_add_f64 v[130:131], v[132:133], v[130:131]
	v_fma_f64 v[132:133], v[90:91], s[2:3], -v[150:151]
	v_add_f64 v[18:19], v[160:161], v[18:19]
	v_fma_f64 v[160:161], s[20:21], v[106:107], v[22:23]
	v_add_f64 v[130:131], v[132:133], v[130:131]
	v_fma_f64 v[22:23], v[106:107], s[20:21], -v[22:23]
	v_add_f64 v[22:23], v[22:23], v[130:131]
	v_mul_f64 v[130:131], v[54:55], s[36:37]
	v_fma_f64 v[132:133], v[62:63], s[28:29], -v[130:131]
	v_add_f64 v[34:35], v[132:133], v[34:35]
	v_mul_f64 v[132:133], v[52:53], s[36:37]
	v_fma_f64 v[134:135], s[28:29], v[60:61], v[132:133]
	v_fmac_f64_e32 v[136:137], s[16:17], v[58:59]
	v_add_f64 v[32:33], v[134:135], v[32:33]
	v_mul_f64 v[134:135], v[46:47], s[48:49]
	v_add_f64 v[20:21], v[136:137], v[20:21]
	v_fma_f64 v[136:137], v[66:67], s[16:17], -v[134:135]
	v_add_f64 v[34:35], v[136:137], v[34:35]
	v_mul_f64 v[136:137], v[44:45], s[48:49]
	v_fma_f64 v[138:139], s[16:17], v[64:65], v[136:137]
	v_fmac_f64_e32 v[140:141], s[12:13], v[70:71]
	v_add_f64 v[32:33], v[138:139], v[32:33]
	v_mul_f64 v[138:139], v[50:51], s[42:43]
	v_add_f64 v[20:21], v[140:141], v[20:21]
	v_fma_f64 v[140:141], v[58:59], s[14:15], -v[138:139]
	v_add_f64 v[34:35], v[140:141], v[34:35]
	v_mul_f64 v[140:141], v[48:49], s[42:43]
	v_fma_f64 v[142:143], s[14:15], v[56:57], v[140:141]
	v_fmac_f64_e32 v[144:145], s[14:15], v[84:85]
	v_add_f64 v[32:33], v[142:143], v[32:33]
	v_mul_f64 v[142:143], v[80:81], s[44:45]
	v_add_f64 v[20:21], v[144:145], v[20:21]
	v_fma_f64 v[144:145], v[70:71], s[4:5], -v[142:143]
	v_add_f64 v[34:35], v[144:145], v[34:35]
	v_mul_f64 v[144:145], v[78:79], s[44:45]
	v_fma_f64 v[146:147], s[4:5], v[68:69], v[144:145]
	v_fmac_f64_e32 v[148:149], s[2:3], v[92:93]
	v_add_f64 v[32:33], v[146:147], v[32:33]
	v_mul_f64 v[146:147], v[88:89], s[26:27]
	v_add_f64 v[20:21], v[148:149], v[20:21]
	v_fma_f64 v[148:149], v[84:85], s[20:21], -v[146:147]
	v_add_f64 v[34:35], v[148:149], v[34:35]
	v_mul_f64 v[148:149], v[86:87], s[26:27]
	v_fmac_f64_e32 v[130:131], s[28:29], v[62:63]
	v_fma_f64 v[150:151], s[20:21], v[82:83], v[148:149]
	s_mov_b32 s55, 0x3fe9895b
	s_mov_b32 s54, s24
	v_add_f64 v[30:31], v[130:131], v[30:31]
	v_fma_f64 v[130:131], v[60:61], s[28:29], -v[132:133]
	v_fmac_f64_e32 v[134:135], s[16:17], v[66:67]
	v_fmac_f64_e32 v[152:153], s[20:21], v[108:109]
	v_add_f64 v[32:33], v[150:151], v[32:33]
	v_mul_f64 v[150:151], v[102:103], s[54:55]
	v_add_f64 v[28:29], v[130:131], v[28:29]
	v_add_f64 v[30:31], v[134:135], v[30:31]
	v_fma_f64 v[130:131], v[64:65], s[16:17], -v[136:137]
	v_fmac_f64_e32 v[138:139], s[14:15], v[58:59]
	v_add_f64 v[20:21], v[152:153], v[20:21]
	v_fma_f64 v[152:153], v[92:93], s[18:19], -v[150:151]
	v_add_f64 v[28:29], v[130:131], v[28:29]
	v_add_f64 v[30:31], v[138:139], v[30:31]
	v_fma_f64 v[130:131], v[56:57], s[14:15], -v[140:141]
	v_fmac_f64_e32 v[142:143], s[4:5], v[70:71]
	v_add_f64 v[34:35], v[152:153], v[34:35]
	v_mul_f64 v[152:153], v[100:101], s[54:55]
	v_add_f64 v[28:29], v[130:131], v[28:29]
	v_add_f64 v[30:31], v[142:143], v[30:31]
	v_fma_f64 v[130:131], v[68:69], s[4:5], -v[144:145]
	v_fmac_f64_e32 v[146:147], s[20:21], v[84:85]
	v_fma_f64 v[154:155], s[18:19], v[90:91], v[152:153]
	v_mul_f64 v[156:157], v[112:113], s[46:47]
	v_add_f64 v[28:29], v[130:131], v[28:29]
	v_add_f64 v[30:31], v[146:147], v[30:31]
	v_fma_f64 v[130:131], v[82:83], s[20:21], -v[148:149]
	v_fmac_f64_e32 v[150:151], s[18:19], v[92:93]
	v_add_f64 v[26:27], v[160:161], v[26:27]
	v_add_f64 v[154:155], v[154:155], v[32:33]
	v_fma_f64 v[32:33], v[108:109], s[12:13], -v[156:157]
	v_mul_f64 v[160:161], v[110:111], s[46:47]
	v_add_f64 v[28:29], v[130:131], v[28:29]
	v_add_f64 v[30:31], v[150:151], v[30:31]
	v_fma_f64 v[130:131], v[90:91], s[18:19], -v[152:153]
	v_fmac_f64_e32 v[156:157], s[12:13], v[108:109]
	v_add_f64 v[130:131], v[130:131], v[28:29]
	v_add_f64 v[28:29], v[156:157], v[30:31]
	v_fma_f64 v[30:31], v[106:107], s[12:13], -v[160:161]
	v_add_f64 v[30:31], v[30:31], v[130:131]
	v_mul_f64 v[130:131], v[54:55], s[52:53]
	v_fma_f64 v[132:133], v[62:63], s[20:21], -v[130:131]
	v_add_f64 v[42:43], v[132:133], v[42:43]
	v_mul_f64 v[132:133], v[52:53], s[52:53]
	v_fma_f64 v[134:135], s[20:21], v[60:61], v[132:133]
	v_add_f64 v[40:41], v[134:135], v[40:41]
	v_mul_f64 v[134:135], v[46:47], s[46:47]
	v_fma_f64 v[136:137], v[66:67], s[12:13], -v[134:135]
	v_add_f64 v[42:43], v[136:137], v[42:43]
	v_mul_f64 v[136:137], v[44:45], s[46:47]
	v_fma_f64 v[138:139], s[12:13], v[64:65], v[136:137]
	;; [unrolled: 6-line block ×4, first 2 shown]
	s_mov_b32 s51, 0x3fefdd0d
	s_mov_b32 s50, s34
	v_add_f64 v[40:41], v[146:147], v[40:41]
	v_mul_f64 v[146:147], v[88:89], s[50:51]
	v_fma_f64 v[148:149], v[84:85], s[2:3], -v[146:147]
	v_add_f64 v[42:43], v[148:149], v[42:43]
	v_mul_f64 v[148:149], v[86:87], s[50:51]
	v_fmac_f64_e32 v[130:131], s[20:21], v[62:63]
	v_fma_f64 v[150:151], s[2:3], v[82:83], v[148:149]
	v_add_f64 v[38:39], v[130:131], v[38:39]
	v_fma_f64 v[130:131], v[60:61], s[20:21], -v[132:133]
	v_fmac_f64_e32 v[134:135], s[12:13], v[66:67]
	v_add_f64 v[40:41], v[150:151], v[40:41]
	v_mul_f64 v[150:151], v[102:103], s[30:31]
	v_add_f64 v[36:37], v[130:131], v[36:37]
	v_add_f64 v[38:39], v[134:135], v[38:39]
	v_fma_f64 v[130:131], v[64:65], s[12:13], -v[136:137]
	v_fmac_f64_e32 v[138:139], s[4:5], v[58:59]
	v_fma_f64 v[152:153], v[92:93], s[14:15], -v[150:151]
	v_add_f64 v[36:37], v[130:131], v[36:37]
	v_add_f64 v[38:39], v[138:139], v[38:39]
	v_fma_f64 v[130:131], v[56:57], s[4:5], -v[140:141]
	v_fmac_f64_e32 v[142:143], s[28:29], v[70:71]
	v_add_f64 v[32:33], v[32:33], v[34:35]
	v_fma_f64 v[34:35], s[12:13], v[106:107], v[160:161]
	v_add_f64 v[42:43], v[152:153], v[42:43]
	v_mul_f64 v[152:153], v[100:101], s[30:31]
	v_add_f64 v[36:37], v[130:131], v[36:37]
	v_add_f64 v[38:39], v[142:143], v[38:39]
	v_fma_f64 v[130:131], v[68:69], s[28:29], -v[144:145]
	v_fmac_f64_e32 v[146:147], s[2:3], v[84:85]
	v_add_f64 v[34:35], v[34:35], v[154:155]
	v_fma_f64 v[154:155], s[14:15], v[90:91], v[152:153]
	v_mul_f64 v[156:157], v[112:113], s[24:25]
	v_add_f64 v[36:37], v[130:131], v[36:37]
	v_add_f64 v[38:39], v[146:147], v[38:39]
	v_fma_f64 v[130:131], v[82:83], s[2:3], -v[148:149]
	v_fmac_f64_e32 v[150:151], s[14:15], v[92:93]
	v_add_f64 v[154:155], v[154:155], v[40:41]
	v_fma_f64 v[40:41], v[108:109], s[18:19], -v[156:157]
	v_mul_f64 v[160:161], v[110:111], s[24:25]
	v_add_f64 v[36:37], v[130:131], v[36:37]
	v_add_f64 v[38:39], v[150:151], v[38:39]
	v_fma_f64 v[130:131], v[90:91], s[14:15], -v[152:153]
	v_fmac_f64_e32 v[156:157], s[18:19], v[108:109]
	v_add_f64 v[130:131], v[130:131], v[36:37]
	v_add_f64 v[36:37], v[156:157], v[38:39]
	v_fma_f64 v[38:39], v[106:107], s[18:19], -v[160:161]
	v_add_f64 v[38:39], v[38:39], v[130:131]
	v_mul_f64 v[130:131], v[54:55], s[48:49]
	v_fma_f64 v[132:133], v[62:63], s[16:17], -v[130:131]
	v_add_f64 v[128:129], v[132:133], v[128:129]
	v_mul_f64 v[132:133], v[52:53], s[48:49]
	v_fma_f64 v[134:135], s[16:17], v[60:61], v[132:133]
	v_add_f64 v[126:127], v[134:135], v[126:127]
	v_mul_f64 v[134:135], v[46:47], s[30:31]
	v_fma_f64 v[136:137], v[66:67], s[14:15], -v[134:135]
	v_add_f64 v[128:129], v[136:137], v[128:129]
	v_mul_f64 v[136:137], v[44:45], s[30:31]
	v_fma_f64 v[138:139], s[14:15], v[64:65], v[136:137]
	;; [unrolled: 6-line block ×4, first 2 shown]
	v_add_f64 v[126:127], v[146:147], v[126:127]
	v_mul_f64 v[146:147], v[88:89], s[38:39]
	v_fma_f64 v[148:149], v[84:85], s[12:13], -v[146:147]
	v_add_f64 v[128:129], v[148:149], v[128:129]
	v_mul_f64 v[148:149], v[86:87], s[38:39]
	v_fmac_f64_e32 v[130:131], s[16:17], v[62:63]
	v_fma_f64 v[150:151], s[12:13], v[82:83], v[148:149]
	v_add_f64 v[124:125], v[130:131], v[124:125]
	v_fma_f64 v[130:131], v[60:61], s[16:17], -v[132:133]
	v_fmac_f64_e32 v[134:135], s[14:15], v[66:67]
	v_add_f64 v[126:127], v[150:151], v[126:127]
	v_mul_f64 v[150:151], v[102:103], s[36:37]
	v_add_f64 v[122:123], v[130:131], v[122:123]
	v_add_f64 v[124:125], v[134:135], v[124:125]
	v_fma_f64 v[130:131], v[64:65], s[14:15], -v[136:137]
	v_fmac_f64_e32 v[138:139], s[20:21], v[58:59]
	v_fma_f64 v[152:153], v[92:93], s[28:29], -v[150:151]
	v_add_f64 v[122:123], v[130:131], v[122:123]
	v_add_f64 v[124:125], v[138:139], v[124:125]
	v_fma_f64 v[130:131], v[56:57], s[20:21], -v[140:141]
	v_fmac_f64_e32 v[142:143], s[2:3], v[70:71]
	v_add_f64 v[40:41], v[40:41], v[42:43]
	v_fma_f64 v[42:43], s[18:19], v[106:107], v[160:161]
	v_add_f64 v[128:129], v[152:153], v[128:129]
	v_mul_f64 v[152:153], v[100:101], s[36:37]
	v_add_f64 v[122:123], v[130:131], v[122:123]
	v_add_f64 v[124:125], v[142:143], v[124:125]
	v_fma_f64 v[130:131], v[68:69], s[2:3], -v[144:145]
	v_fmac_f64_e32 v[146:147], s[12:13], v[84:85]
	v_add_f64 v[42:43], v[42:43], v[154:155]
	v_fma_f64 v[154:155], s[28:29], v[90:91], v[152:153]
	v_mul_f64 v[156:157], v[112:113], s[40:41]
	v_add_f64 v[122:123], v[130:131], v[122:123]
	v_add_f64 v[124:125], v[146:147], v[124:125]
	v_fma_f64 v[130:131], v[82:83], s[12:13], -v[148:149]
	v_fmac_f64_e32 v[150:151], s[28:29], v[92:93]
	v_add_f64 v[154:155], v[154:155], v[126:127]
	v_fma_f64 v[126:127], v[108:109], s[4:5], -v[156:157]
	v_mul_f64 v[160:161], v[110:111], s[40:41]
	v_add_f64 v[122:123], v[130:131], v[122:123]
	v_add_f64 v[124:125], v[150:151], v[124:125]
	v_fma_f64 v[130:131], v[90:91], s[28:29], -v[152:153]
	v_fmac_f64_e32 v[156:157], s[4:5], v[108:109]
	v_add_f64 v[130:131], v[130:131], v[122:123]
	v_add_f64 v[122:123], v[156:157], v[124:125]
	v_fma_f64 v[124:125], v[106:107], s[4:5], -v[160:161]
	v_add_f64 v[124:125], v[124:125], v[130:131]
	v_mul_f64 v[130:131], v[54:55], s[40:41]
	v_fma_f64 v[132:133], v[62:63], s[4:5], -v[130:131]
	v_add_f64 v[120:121], v[132:133], v[120:121]
	v_mul_f64 v[132:133], v[52:53], s[40:41]
	v_fma_f64 v[134:135], s[4:5], v[60:61], v[132:133]
	v_add_f64 v[118:119], v[134:135], v[118:119]
	v_mul_f64 v[134:135], v[46:47], s[34:35]
	v_fma_f64 v[136:137], v[66:67], s[2:3], -v[134:135]
	v_add_f64 v[120:121], v[136:137], v[120:121]
	v_mul_f64 v[136:137], v[44:45], s[34:35]
	v_fma_f64 v[138:139], s[2:3], v[64:65], v[136:137]
	;; [unrolled: 6-line block ×4, first 2 shown]
	v_add_f64 v[118:119], v[146:147], v[118:119]
	v_mul_f64 v[146:147], v[88:89], s[36:37]
	v_fma_f64 v[148:149], v[84:85], s[28:29], -v[146:147]
	v_add_f64 v[120:121], v[148:149], v[120:121]
	v_mul_f64 v[148:149], v[86:87], s[36:37]
	v_fmac_f64_e32 v[130:131], s[4:5], v[62:63]
	v_fma_f64 v[150:151], s[28:29], v[82:83], v[148:149]
	v_add_f64 v[116:117], v[130:131], v[116:117]
	v_fma_f64 v[130:131], v[60:61], s[4:5], -v[132:133]
	v_fmac_f64_e32 v[134:135], s[2:3], v[66:67]
	v_add_f64 v[118:119], v[150:151], v[118:119]
	v_mul_f64 v[150:151], v[102:103], s[46:47]
	v_add_f64 v[114:115], v[130:131], v[114:115]
	v_add_f64 v[116:117], v[134:135], v[116:117]
	v_fma_f64 v[130:131], v[64:65], s[2:3], -v[136:137]
	v_fmac_f64_e32 v[138:139], s[18:19], v[58:59]
	v_fma_f64 v[152:153], v[92:93], s[12:13], -v[150:151]
	v_add_f64 v[114:115], v[130:131], v[114:115]
	v_add_f64 v[116:117], v[138:139], v[116:117]
	v_fma_f64 v[130:131], v[56:57], s[18:19], -v[140:141]
	v_fmac_f64_e32 v[142:143], s[14:15], v[70:71]
	v_add_f64 v[126:127], v[126:127], v[128:129]
	v_fma_f64 v[128:129], s[4:5], v[106:107], v[160:161]
	v_add_f64 v[120:121], v[152:153], v[120:121]
	v_mul_f64 v[152:153], v[100:101], s[46:47]
	v_add_f64 v[114:115], v[130:131], v[114:115]
	v_add_f64 v[116:117], v[142:143], v[116:117]
	v_fma_f64 v[130:131], v[68:69], s[14:15], -v[144:145]
	v_fmac_f64_e32 v[146:147], s[28:29], v[84:85]
	v_add_f64 v[128:129], v[128:129], v[154:155]
	v_fma_f64 v[154:155], s[12:13], v[90:91], v[152:153]
	v_mul_f64 v[156:157], v[112:113], s[22:23]
	v_add_f64 v[114:115], v[130:131], v[114:115]
	v_add_f64 v[116:117], v[146:147], v[116:117]
	v_fma_f64 v[130:131], v[82:83], s[28:29], -v[148:149]
	v_fmac_f64_e32 v[150:151], s[12:13], v[92:93]
	v_add_f64 v[154:155], v[154:155], v[118:119]
	v_fma_f64 v[118:119], v[108:109], s[16:17], -v[156:157]
	v_mul_f64 v[160:161], v[110:111], s[22:23]
	v_add_f64 v[114:115], v[130:131], v[114:115]
	v_add_f64 v[116:117], v[150:151], v[116:117]
	v_fma_f64 v[130:131], v[90:91], s[12:13], -v[152:153]
	v_fmac_f64_e32 v[156:157], s[16:17], v[108:109]
	v_add_f64 v[130:131], v[130:131], v[114:115]
	v_add_f64 v[114:115], v[156:157], v[116:117]
	v_fma_f64 v[116:117], v[106:107], s[16:17], -v[160:161]
	v_mul_f64 v[54:55], v[54:55], s[42:43]
	v_add_f64 v[116:117], v[116:117], v[130:131]
	v_fma_f64 v[130:131], v[62:63], s[14:15], -v[54:55]
	v_mul_f64 v[52:53], v[52:53], s[42:43]
	v_add_f64 v[104:105], v[130:131], v[104:105]
	v_fma_f64 v[130:131], s[14:15], v[60:61], v[52:53]
	v_add_f64 v[98:99], v[130:131], v[98:99]
	v_mul_f64 v[130:131], v[46:47], s[26:27]
	v_fma_f64 v[46:47], v[66:67], s[20:21], -v[130:131]
	v_add_f64 v[46:47], v[46:47], v[104:105]
	v_mul_f64 v[104:105], v[44:45], s[26:27]
	v_fma_f64 v[44:45], s[20:21], v[64:65], v[104:105]
	v_mul_f64 v[50:51], v[50:51], s[46:47]
	v_add_f64 v[44:45], v[44:45], v[98:99]
	v_fma_f64 v[98:99], v[58:59], s[12:13], -v[50:51]
	v_mul_f64 v[48:49], v[48:49], s[46:47]
	v_add_f64 v[46:47], v[98:99], v[46:47]
	v_fma_f64 v[98:99], s[12:13], v[56:57], v[48:49]
	v_mul_f64 v[80:81], v[80:81], s[24:25]
	v_add_f64 v[44:45], v[98:99], v[44:45]
	v_fma_f64 v[98:99], v[70:71], s[18:19], -v[80:81]
	v_mul_f64 v[78:79], v[78:79], s[24:25]
	v_add_f64 v[46:47], v[98:99], v[46:47]
	v_fma_f64 v[98:99], s[18:19], v[68:69], v[78:79]
	v_mul_f64 v[88:89], v[88:89], s[40:41]
	v_fmac_f64_e32 v[54:55], s[14:15], v[62:63]
	v_fma_f64 v[52:53], v[60:61], s[14:15], -v[52:53]
	v_add_f64 v[44:45], v[98:99], v[44:45]
	v_fma_f64 v[98:99], v[84:85], s[4:5], -v[88:89]
	v_mul_f64 v[86:87], v[86:87], s[40:41]
	v_add_f64 v[54:55], v[54:55], v[96:97]
	v_add_f64 v[52:53], v[52:53], v[94:95]
	v_fmac_f64_e32 v[130:131], s[20:21], v[66:67]
	v_fma_f64 v[60:61], v[64:65], s[20:21], -v[104:105]
	v_add_f64 v[46:47], v[98:99], v[46:47]
	v_fma_f64 v[98:99], s[4:5], v[82:83], v[86:87]
	v_add_f64 v[54:55], v[130:131], v[54:55]
	v_add_f64 v[52:53], v[60:61], v[52:53]
	v_fmac_f64_e32 v[50:51], s[12:13], v[58:59]
	v_fma_f64 v[48:49], v[56:57], s[12:13], -v[48:49]
	v_add_f64 v[44:45], v[98:99], v[44:45]
	v_mul_f64 v[98:99], v[102:103], s[22:23]
	v_add_f64 v[50:51], v[50:51], v[54:55]
	v_add_f64 v[48:49], v[48:49], v[52:53]
	v_fmac_f64_e32 v[80:81], s[18:19], v[70:71]
	v_fma_f64 v[52:53], v[68:69], s[18:19], -v[78:79]
	v_fma_f64 v[102:103], v[92:93], s[16:17], -v[98:99]
	v_mul_f64 v[100:101], v[100:101], s[22:23]
	v_add_f64 v[50:51], v[80:81], v[50:51]
	v_add_f64 v[48:49], v[52:53], v[48:49]
	v_fmac_f64_e32 v[88:89], s[4:5], v[84:85]
	v_fma_f64 v[52:53], v[82:83], s[4:5], -v[86:87]
	v_add_f64 v[46:47], v[102:103], v[46:47]
	v_fma_f64 v[102:103], s[16:17], v[90:91], v[100:101]
	v_mul_f64 v[112:113], v[112:113], s[50:51]
	v_mul_f64 v[110:111], v[110:111], s[50:51]
	v_add_f64 v[50:51], v[88:89], v[50:51]
	v_add_f64 v[48:49], v[52:53], v[48:49]
	v_fmac_f64_e32 v[98:99], s[16:17], v[92:93]
	v_fma_f64 v[52:53], v[90:91], s[16:17], -v[100:101]
	v_add_f64 v[102:103], v[102:103], v[44:45]
	v_fma_f64 v[44:45], v[108:109], s[2:3], -v[112:113]
	v_add_f64 v[50:51], v[98:99], v[50:51]
	v_add_f64 v[52:53], v[52:53], v[48:49]
	v_fmac_f64_e32 v[112:113], s[2:3], v[108:109]
	v_fma_f64 v[54:55], v[106:107], s[2:3], -v[110:111]
	s_movk_i32 s33, 0x110
	v_add_f64 v[118:119], v[118:119], v[120:121]
	v_fma_f64 v[120:121], s[16:17], v[106:107], v[160:161]
	v_add_f64 v[44:45], v[44:45], v[46:47]
	v_fma_f64 v[46:47], s[2:3], v[106:107], v[110:111]
	v_add_f64 v[48:49], v[112:113], v[50:51]
	v_add_f64 v[50:51], v[54:55], v[52:53]
	v_mad_u32_u24 v52, v74, s33, 0
	s_movk_i32 s33, 0xf1
	v_add_f64 v[120:121], v[120:121], v[154:155]
	v_add_f64 v[46:47], v[46:47], v[102:103]
	s_barrier
	ds_write_b128 v52, v[0:3]
	ds_write_b128 v52, v[8:11] offset:16
	ds_write_b128 v52, v[16:19] offset:32
	;; [unrolled: 1-line block ×16, first 2 shown]
	v_mul_lo_u16_sdwa v0, v74, s33 dst_sel:DWORD dst_unused:UNUSED_PAD src0_sel:BYTE_0 src1_sel:DWORD
	v_lshrrev_b16_e32 v75, 12, v0
	v_mul_lo_u16_e32 v0, 17, v75
	v_sub_u16_e32 v159, v74, v0
	v_mov_b32_e32 v0, 8
	v_lshlrev_b32_sdwa v40, v0, v159 dst_sel:DWORD dst_unused:UNUSED_PAD src0_sel:DWORD src1_sel:BYTE_0
	s_waitcnt lgkmcnt(0)
	s_barrier
	global_load_dwordx4 v[12:15], v40, s[8:9]
	global_load_dwordx4 v[8:11], v40, s[8:9] offset:16
	global_load_dwordx4 v[4:7], v40, s[8:9] offset:32
	;; [unrolled: 1-line block ×15, first 2 shown]
	ds_read_b128 v[48:51], v158 offset:1632
	ds_read_b128 v[40:43], v158
	ds_read_b128 v[64:67], v158 offset:3264
	s_waitcnt vmcnt(15) lgkmcnt(2)
	v_mul_f64 v[56:57], v[50:51], v[14:15]
	v_fma_f64 v[56:57], v[48:49], v[12:13], -v[56:57]
	v_mul_f64 v[48:49], v[48:49], v[14:15]
	v_fmac_f64_e32 v[48:49], v[50:51], v[12:13]
	ds_read_b128 v[12:15], v158 offset:4896
	s_waitcnt vmcnt(14) lgkmcnt(1)
	v_mul_f64 v[50:51], v[66:67], v[10:11]
	v_mul_f64 v[58:59], v[64:65], v[10:11]
	v_fma_f64 v[50:51], v[64:65], v[8:9], -v[50:51]
	v_fmac_f64_e32 v[58:59], v[66:67], v[8:9]
	ds_read_b128 v[8:11], v158 offset:6528
	s_waitcnt vmcnt(13) lgkmcnt(1)
	v_mul_f64 v[64:65], v[14:15], v[6:7]
	v_mul_f64 v[80:81], v[12:13], v[6:7]
	v_fma_f64 v[66:67], v[12:13], v[4:5], -v[64:65]
	;; [unrolled: 6-line block ×4, first 2 shown]
	v_fmac_f64_e32 v[108:109], v[6:7], v[28:29]
	ds_read_b128 v[4:7], v158 offset:11424
	s_waitcnt vmcnt(10) lgkmcnt(1)
	v_mul_f64 v[8:9], v[2:3], v[26:27]
	v_fma_f64 v[112:113], v[0:1], v[24:25], -v[8:9]
	ds_read_b128 v[8:11], v158 offset:13056
	ds_read_b128 v[12:15], v158 offset:14688
	v_mul_f64 v[116:117], v[0:1], v[26:27]
	s_waitcnt vmcnt(9) lgkmcnt(2)
	v_mul_f64 v[0:1], v[6:7], v[22:23]
	v_fma_f64 v[26:27], v[4:5], v[20:21], -v[0:1]
	s_waitcnt vmcnt(8) lgkmcnt(1)
	v_mul_f64 v[0:1], v[10:11], v[18:19]
	v_fmac_f64_e32 v[116:117], v[2:3], v[24:25]
	v_fma_f64 v[2:3], v[8:9], v[16:17], -v[0:1]
	v_mul_f64 v[0:1], v[8:9], v[18:19]
	v_fmac_f64_e32 v[0:1], v[10:11], v[16:17]
	ds_read_b128 v[8:11], v158 offset:16320
	v_mul_f64 v[24:25], v[4:5], v[22:23]
	s_waitcnt vmcnt(7) lgkmcnt(1)
	v_mul_f64 v[4:5], v[14:15], v[38:39]
	v_fmac_f64_e32 v[24:25], v[6:7], v[20:21]
	v_fma_f64 v[6:7], v[12:13], v[36:37], -v[4:5]
	v_mul_f64 v[4:5], v[12:13], v[38:39]
	v_fmac_f64_e32 v[4:5], v[14:15], v[36:37]
	ds_read_b128 v[12:15], v158 offset:17952
	s_waitcnt vmcnt(6) lgkmcnt(1)
	v_mul_f64 v[16:17], v[10:11], v[34:35]
	v_mul_f64 v[28:29], v[8:9], v[34:35]
	v_fma_f64 v[30:31], v[8:9], v[32:33], -v[16:17]
	v_fmac_f64_e32 v[28:29], v[10:11], v[32:33]
	ds_read_b128 v[8:11], v158 offset:19584
	s_waitcnt vmcnt(5) lgkmcnt(1)
	v_mul_f64 v[16:17], v[14:15], v[46:47]
	v_mul_f64 v[118:119], v[12:13], v[46:47]
	v_fma_f64 v[114:115], v[12:13], v[44:45], -v[16:17]
	;; [unrolled: 6-line block ×6, first 2 shown]
	v_fmac_f64_e32 v[122:123], v[14:15], v[82:83]
	s_waitcnt vmcnt(0) lgkmcnt(0)
	v_mul_f64 v[12:13], v[10:11], v[92:93]
	v_mul_f64 v[14:15], v[8:9], v[92:93]
	v_fma_f64 v[12:13], v[8:9], v[90:91], -v[12:13]
	v_fmac_f64_e32 v[14:15], v[10:11], v[90:91]
	v_add_f64 v[8:9], v[40:41], v[56:57]
	v_add_f64 v[10:11], v[42:43], v[48:49]
	;; [unrolled: 1-line block ×33, first 2 shown]
	v_add_f64 v[12:13], v[56:57], -v[12:13]
	v_add_f64 v[18:19], v[48:49], v[14:15]
	v_add_f64 v[14:15], v[48:49], -v[14:15]
	v_mul_f64 v[20:21], v[14:15], s[30:31]
	v_mul_f64 v[32:33], v[14:15], s[38:39]
	;; [unrolled: 1-line block ×11, first 2 shown]
	v_fma_f64 v[22:23], v[16:17], s[14:15], -v[20:21]
	v_fmac_f64_e32 v[20:21], s[14:15], v[16:17]
	v_fma_f64 v[34:35], v[16:17], s[12:13], -v[32:33]
	v_fmac_f64_e32 v[32:33], s[12:13], v[16:17]
	;; [unrolled: 2-line block ×8, first 2 shown]
	v_fma_f64 v[16:17], s[14:15], v[18:19], v[14:15]
	v_fma_f64 v[14:15], v[18:19], s[14:15], -v[14:15]
	v_mul_f64 v[68:69], v[12:13], s[38:39]
	v_mul_f64 v[82:83], v[12:13], s[44:45]
	v_fma_f64 v[92:93], s[2:3], v[18:19], v[90:91]
	v_fma_f64 v[138:139], s[16:17], v[18:19], v[98:99]
	v_fma_f64 v[140:141], v[18:19], s[16:17], -v[98:99]
	v_mul_f64 v[98:99], v[12:13], s[24:25]
	v_fma_f64 v[70:71], s[12:13], v[18:19], v[68:69]
	v_fma_f64 v[84:85], s[4:5], v[18:19], v[82:83]
	;; [unrolled: 1-line block ×3, first 2 shown]
	v_fma_f64 v[144:145], v[18:19], s[18:19], -v[98:99]
	v_mul_f64 v[98:99], v[12:13], s[26:27]
	v_mul_f64 v[12:13], v[12:13], s[36:37]
	v_add_f64 v[154:155], v[40:41], v[22:23]
	v_add_f64 v[134:135], v[42:43], v[14:15]
	;; [unrolled: 1-line block ×7, first 2 shown]
	v_add_f64 v[56:57], v[50:51], -v[64:65]
	v_add_f64 v[50:51], v[58:59], v[122:123]
	v_add_f64 v[58:59], v[58:59], -v[122:123]
	v_fma_f64 v[68:69], v[18:19], s[12:13], -v[68:69]
	v_fma_f64 v[82:83], v[18:19], s[4:5], -v[82:83]
	;; [unrolled: 1-line block ×3, first 2 shown]
	v_fma_f64 v[146:147], s[20:21], v[18:19], v[98:99]
	v_fma_f64 v[148:149], v[18:19], s[20:21], -v[98:99]
	v_fma_f64 v[150:151], s[28:29], v[18:19], v[12:13]
	v_fma_f64 v[152:153], v[18:19], s[28:29], -v[12:13]
	v_add_f64 v[136:137], v[40:41], v[20:21]
	v_add_f64 v[132:133], v[40:41], v[34:35]
	;; [unrolled: 1-line block ×14, first 2 shown]
	v_mul_f64 v[40:41], v[58:59], s[38:39]
	v_add_f64 v[156:157], v[42:43], v[16:17]
	v_add_f64 v[120:121], v[42:43], v[68:69]
	;; [unrolled: 1-line block ×12, first 2 shown]
	v_fma_f64 v[42:43], v[48:49], s[12:13], -v[40:41]
	v_add_f64 v[122:123], v[42:43], v[154:155]
	v_mul_f64 v[42:43], v[56:57], s[38:39]
	v_fma_f64 v[64:65], s[12:13], v[50:51], v[42:43]
	v_add_f64 v[126:127], v[64:65], v[156:157]
	v_add_f64 v[64:65], v[66:67], v[78:79]
	v_add_f64 v[78:79], v[66:67], -v[78:79]
	v_add_f64 v[66:67], v[80:81], v[86:87]
	v_add_f64 v[80:81], v[80:81], -v[86:87]
	v_mul_f64 v[146:147], v[80:81], s[44:45]
	v_fma_f64 v[86:87], v[64:65], s[4:5], -v[146:147]
	v_mul_f64 v[148:149], v[78:79], s[44:45]
	v_add_f64 v[122:123], v[86:87], v[122:123]
	v_fma_f64 v[86:87], s[4:5], v[66:67], v[148:149]
	v_add_f64 v[126:127], v[86:87], v[126:127]
	v_add_f64 v[86:87], v[88:89], v[94:95]
	v_add_f64 v[94:95], v[88:89], -v[94:95]
	v_add_f64 v[88:89], v[96:97], v[102:103]
	v_add_f64 v[96:97], v[96:97], -v[102:103]
	v_mul_f64 v[150:151], v[96:97], s[34:35]
	v_fma_f64 v[102:103], v[86:87], s[2:3], -v[150:151]
	v_mul_f64 v[152:153], v[94:95], s[34:35]
	v_add_f64 v[122:123], v[102:103], v[122:123]
	;; [unrolled: 10-line block ×4, first 2 shown]
	v_fma_f64 v[118:119], s[18:19], v[112:113], v[162:163]
	v_add_f64 v[140:141], v[118:119], v[126:127]
	v_add_f64 v[126:127], v[26:27], -v[30:31]
	v_add_f64 v[128:129], v[24:25], -v[28:29]
	v_add_f64 v[118:119], v[26:27], v[30:31]
	v_add_f64 v[122:123], v[24:25], v[28:29]
	v_mul_f64 v[28:29], v[128:129], s[26:27]
	v_mul_f64 v[30:31], v[126:127], s[26:27]
	v_fma_f64 v[24:25], v[118:119], s[20:21], -v[28:29]
	v_fma_f64 v[26:27], s[20:21], v[122:123], v[30:31]
	v_add_f64 v[144:145], v[0:1], -v[4:5]
	v_add_f64 v[24:25], v[24:25], v[138:139]
	v_add_f64 v[26:27], v[26:27], v[140:141]
	;; [unrolled: 1-line block ×4, first 2 shown]
	v_mul_f64 v[0:1], v[144:145], s[36:37]
	v_add_f64 v[142:143], v[2:3], -v[6:7]
	v_fma_f64 v[2:3], v[140:141], s[28:29], -v[0:1]
	v_add_f64 v[24:25], v[2:3], v[24:25]
	v_mul_f64 v[2:3], v[142:143], s[36:37]
	v_fma_f64 v[4:5], s[28:29], v[138:139], v[2:3]
	v_fmac_f64_e32 v[40:41], s[12:13], v[48:49]
	v_add_f64 v[26:27], v[4:5], v[26:27]
	v_add_f64 v[4:5], v[40:41], v[136:137]
	v_fma_f64 v[6:7], v[50:51], s[12:13], -v[42:43]
	v_fmac_f64_e32 v[146:147], s[4:5], v[64:65]
	v_add_f64 v[6:7], v[6:7], v[134:135]
	v_add_f64 v[4:5], v[146:147], v[4:5]
	v_fma_f64 v[40:41], v[66:67], s[4:5], -v[148:149]
	;; [unrolled: 4-line block ×7, first 2 shown]
	v_mul_f64 v[4:5], v[58:59], s[34:35]
	v_mul_f64 v[40:41], v[56:57], s[34:35]
	v_add_f64 v[2:3], v[2:3], v[6:7]
	v_fma_f64 v[6:7], v[48:49], s[2:3], -v[4:5]
	v_fma_f64 v[28:29], s[2:3], v[50:51], v[40:41]
	v_mul_f64 v[42:43], v[80:81], s[24:25]
	v_add_f64 v[6:7], v[6:7], v[132:133]
	v_add_f64 v[28:29], v[28:29], v[130:131]
	v_fma_f64 v[30:31], v[64:65], s[18:19], -v[42:43]
	v_mul_f64 v[130:131], v[78:79], s[24:25]
	v_add_f64 v[6:7], v[30:31], v[6:7]
	v_fma_f64 v[30:31], s[18:19], v[66:67], v[130:131]
	v_mul_f64 v[132:133], v[96:97], s[36:37]
	v_add_f64 v[28:29], v[30:31], v[28:29]
	v_fma_f64 v[30:31], v[86:87], s[28:29], -v[132:133]
	v_mul_f64 v[134:135], v[94:95], s[36:37]
	v_add_f64 v[6:7], v[30:31], v[6:7]
	v_fma_f64 v[30:31], s[28:29], v[88:89], v[134:135]
	v_mul_f64 v[136:137], v[108:109], s[52:53]
	;; [unrolled: 6-line block ×3, first 2 shown]
	v_fmac_f64_e32 v[4:5], s[2:3], v[48:49]
	v_add_f64 v[28:29], v[30:31], v[28:29]
	v_fma_f64 v[30:31], v[110:111], s[16:17], -v[148:149]
	v_mul_f64 v[150:151], v[114:115], s[48:49]
	v_add_f64 v[4:5], v[4:5], v[124:125]
	v_fma_f64 v[40:41], v[50:51], s[2:3], -v[40:41]
	v_fmac_f64_e32 v[42:43], s[18:19], v[64:65]
	v_add_f64 v[6:7], v[30:31], v[6:7]
	v_fma_f64 v[30:31], s[16:17], v[112:113], v[150:151]
	v_mul_f64 v[152:153], v[128:129], s[40:41]
	v_add_f64 v[40:41], v[40:41], v[120:121]
	v_add_f64 v[4:5], v[42:43], v[4:5]
	v_fma_f64 v[42:43], v[66:67], s[18:19], -v[130:131]
	v_add_f64 v[28:29], v[30:31], v[28:29]
	v_fma_f64 v[30:31], v[118:119], s[4:5], -v[152:153]
	v_mul_f64 v[154:155], v[126:127], s[40:41]
	v_add_f64 v[40:41], v[42:43], v[40:41]
	v_fma_f64 v[42:43], v[88:89], s[28:29], -v[134:135]
	v_add_f64 v[6:7], v[30:31], v[6:7]
	v_fma_f64 v[30:31], s[4:5], v[122:123], v[154:155]
	v_mul_f64 v[156:157], v[144:145], s[42:43]
	v_add_f64 v[40:41], v[42:43], v[40:41]
	v_fma_f64 v[42:43], v[104:105], s[20:21], -v[146:147]
	v_add_f64 v[30:31], v[30:31], v[28:29]
	v_fma_f64 v[28:29], v[140:141], s[14:15], -v[156:157]
	;; [unrolled: 2-line block ×3, first 2 shown]
	v_add_f64 v[28:29], v[28:29], v[6:7]
	v_mul_f64 v[6:7], v[142:143], s[42:43]
	v_add_f64 v[40:41], v[42:43], v[40:41]
	v_fma_f64 v[42:43], v[122:123], s[4:5], -v[154:155]
	v_fma_f64 v[160:161], s[14:15], v[138:139], v[6:7]
	v_add_f64 v[40:41], v[42:43], v[40:41]
	v_fma_f64 v[6:7], v[138:139], s[14:15], -v[6:7]
	v_add_f64 v[6:7], v[6:7], v[40:41]
	v_mul_f64 v[40:41], v[58:59], s[24:25]
	v_fma_f64 v[42:43], v[48:49], s[18:19], -v[40:41]
	v_add_f64 v[34:35], v[42:43], v[34:35]
	v_mul_f64 v[42:43], v[56:57], s[24:25]
	v_fma_f64 v[120:121], s[18:19], v[50:51], v[42:43]
	v_add_f64 v[32:33], v[120:121], v[32:33]
	v_mul_f64 v[120:121], v[80:81], s[56:57]
	v_fma_f64 v[124:125], v[64:65], s[28:29], -v[120:121]
	v_add_f64 v[34:35], v[124:125], v[34:35]
	v_mul_f64 v[124:125], v[78:79], s[56:57]
	v_fma_f64 v[130:131], s[28:29], v[66:67], v[124:125]
	v_fmac_f64_e32 v[132:133], s[28:29], v[86:87]
	v_add_f64 v[32:33], v[130:131], v[32:33]
	v_mul_f64 v[130:131], v[96:97], s[48:49]
	v_add_f64 v[4:5], v[132:133], v[4:5]
	v_fma_f64 v[132:133], v[86:87], s[16:17], -v[130:131]
	v_add_f64 v[34:35], v[132:133], v[34:35]
	v_mul_f64 v[132:133], v[94:95], s[48:49]
	v_fma_f64 v[134:135], s[16:17], v[88:89], v[132:133]
	v_fmac_f64_e32 v[136:137], s[20:21], v[102:103]
	v_add_f64 v[32:33], v[134:135], v[32:33]
	v_mul_f64 v[134:135], v[108:109], s[46:47]
	v_add_f64 v[4:5], v[136:137], v[4:5]
	;; [unrolled: 8-line block ×3, first 2 shown]
	v_fma_f64 v[148:149], v[110:111], s[14:15], -v[146:147]
	v_add_f64 v[34:35], v[148:149], v[34:35]
	v_mul_f64 v[148:149], v[114:115], s[30:31]
	v_fmac_f64_e32 v[40:41], s[18:19], v[48:49]
	v_fma_f64 v[150:151], s[14:15], v[112:113], v[148:149]
	v_add_f64 v[14:15], v[40:41], v[14:15]
	v_fma_f64 v[40:41], v[50:51], s[18:19], -v[42:43]
	v_fmac_f64_e32 v[120:121], s[28:29], v[64:65]
	v_fmac_f64_e32 v[152:153], s[4:5], v[118:119]
	v_add_f64 v[32:33], v[150:151], v[32:33]
	v_mul_f64 v[150:151], v[128:129], s[34:35]
	v_add_f64 v[12:13], v[40:41], v[12:13]
	v_add_f64 v[14:15], v[120:121], v[14:15]
	v_fma_f64 v[40:41], v[66:67], s[28:29], -v[124:125]
	v_fmac_f64_e32 v[130:131], s[16:17], v[86:87]
	v_add_f64 v[4:5], v[152:153], v[4:5]
	v_fma_f64 v[152:153], v[118:119], s[2:3], -v[150:151]
	v_add_f64 v[12:13], v[40:41], v[12:13]
	v_add_f64 v[14:15], v[130:131], v[14:15]
	v_fma_f64 v[40:41], v[88:89], s[16:17], -v[132:133]
	v_fmac_f64_e32 v[134:135], s[12:13], v[102:103]
	v_fmac_f64_e32 v[156:157], s[14:15], v[140:141]
	v_add_f64 v[34:35], v[152:153], v[34:35]
	v_mul_f64 v[152:153], v[126:127], s[34:35]
	v_add_f64 v[12:13], v[40:41], v[12:13]
	v_add_f64 v[14:15], v[134:135], v[14:15]
	v_fma_f64 v[40:41], v[104:105], s[12:13], -v[136:137]
	v_fmac_f64_e32 v[146:147], s[14:15], v[110:111]
	v_add_f64 v[4:5], v[156:157], v[4:5]
	v_fma_f64 v[154:155], s[2:3], v[122:123], v[152:153]
	v_mul_f64 v[156:157], v[144:145], s[26:27]
	v_add_f64 v[12:13], v[40:41], v[12:13]
	v_add_f64 v[14:15], v[146:147], v[14:15]
	v_fma_f64 v[40:41], v[112:113], s[14:15], -v[148:149]
	v_fmac_f64_e32 v[150:151], s[2:3], v[118:119]
	v_add_f64 v[30:31], v[160:161], v[30:31]
	v_add_f64 v[154:155], v[154:155], v[32:33]
	v_fma_f64 v[32:33], v[140:141], s[20:21], -v[156:157]
	v_mul_f64 v[160:161], v[142:143], s[26:27]
	v_add_f64 v[12:13], v[40:41], v[12:13]
	v_add_f64 v[14:15], v[150:151], v[14:15]
	v_fma_f64 v[40:41], v[122:123], s[2:3], -v[152:153]
	v_fmac_f64_e32 v[156:157], s[20:21], v[140:141]
	v_add_f64 v[40:41], v[40:41], v[12:13]
	v_add_f64 v[12:13], v[156:157], v[14:15]
	v_fma_f64 v[14:15], v[138:139], s[20:21], -v[160:161]
	v_add_f64 v[14:15], v[14:15], v[40:41]
	v_mul_f64 v[40:41], v[58:59], s[36:37]
	v_fma_f64 v[42:43], v[48:49], s[28:29], -v[40:41]
	v_add_f64 v[38:39], v[42:43], v[38:39]
	v_mul_f64 v[42:43], v[56:57], s[36:37]
	v_fma_f64 v[120:121], s[28:29], v[50:51], v[42:43]
	v_add_f64 v[36:37], v[120:121], v[36:37]
	v_mul_f64 v[120:121], v[80:81], s[48:49]
	v_fma_f64 v[124:125], v[64:65], s[16:17], -v[120:121]
	v_add_f64 v[38:39], v[124:125], v[38:39]
	v_mul_f64 v[124:125], v[78:79], s[48:49]
	v_fma_f64 v[130:131], s[16:17], v[66:67], v[124:125]
	;; [unrolled: 6-line block ×4, first 2 shown]
	v_add_f64 v[36:37], v[146:147], v[36:37]
	v_mul_f64 v[146:147], v[116:117], s[26:27]
	v_fma_f64 v[148:149], v[110:111], s[20:21], -v[146:147]
	v_add_f64 v[38:39], v[148:149], v[38:39]
	v_mul_f64 v[148:149], v[114:115], s[26:27]
	v_fmac_f64_e32 v[40:41], s[28:29], v[48:49]
	v_fma_f64 v[150:151], s[20:21], v[112:113], v[148:149]
	v_add_f64 v[18:19], v[40:41], v[18:19]
	v_fma_f64 v[40:41], v[50:51], s[28:29], -v[42:43]
	v_fmac_f64_e32 v[120:121], s[16:17], v[64:65]
	v_add_f64 v[36:37], v[150:151], v[36:37]
	v_mul_f64 v[150:151], v[128:129], s[54:55]
	v_add_f64 v[16:17], v[40:41], v[16:17]
	v_add_f64 v[18:19], v[120:121], v[18:19]
	v_fma_f64 v[40:41], v[66:67], s[16:17], -v[124:125]
	v_fmac_f64_e32 v[130:131], s[14:15], v[86:87]
	v_fma_f64 v[152:153], v[118:119], s[18:19], -v[150:151]
	v_add_f64 v[16:17], v[40:41], v[16:17]
	v_add_f64 v[18:19], v[130:131], v[18:19]
	v_fma_f64 v[40:41], v[88:89], s[14:15], -v[132:133]
	v_fmac_f64_e32 v[134:135], s[4:5], v[102:103]
	v_add_f64 v[32:33], v[32:33], v[34:35]
	v_fma_f64 v[34:35], s[20:21], v[138:139], v[160:161]
	v_add_f64 v[38:39], v[152:153], v[38:39]
	v_mul_f64 v[152:153], v[126:127], s[54:55]
	v_add_f64 v[16:17], v[40:41], v[16:17]
	v_add_f64 v[18:19], v[134:135], v[18:19]
	v_fma_f64 v[40:41], v[104:105], s[4:5], -v[136:137]
	v_fmac_f64_e32 v[146:147], s[20:21], v[110:111]
	v_add_f64 v[34:35], v[34:35], v[154:155]
	v_fma_f64 v[154:155], s[18:19], v[122:123], v[152:153]
	v_mul_f64 v[156:157], v[144:145], s[46:47]
	v_add_f64 v[16:17], v[40:41], v[16:17]
	v_add_f64 v[18:19], v[146:147], v[18:19]
	v_fma_f64 v[40:41], v[112:113], s[20:21], -v[148:149]
	v_fmac_f64_e32 v[150:151], s[18:19], v[118:119]
	v_add_f64 v[154:155], v[154:155], v[36:37]
	v_fma_f64 v[36:37], v[140:141], s[12:13], -v[156:157]
	v_mul_f64 v[160:161], v[142:143], s[46:47]
	v_add_f64 v[16:17], v[40:41], v[16:17]
	v_add_f64 v[18:19], v[150:151], v[18:19]
	v_fma_f64 v[40:41], v[122:123], s[18:19], -v[152:153]
	v_fmac_f64_e32 v[156:157], s[12:13], v[140:141]
	v_add_f64 v[40:41], v[40:41], v[16:17]
	v_add_f64 v[16:17], v[156:157], v[18:19]
	v_fma_f64 v[18:19], v[138:139], s[12:13], -v[160:161]
	v_mul_f64 v[120:121], v[58:59], s[52:53]
	v_add_f64 v[18:19], v[18:19], v[40:41]
	v_fma_f64 v[40:41], v[48:49], s[20:21], -v[120:121]
	v_add_f64 v[40:41], v[40:41], v[100:101]
	v_mul_f64 v[100:101], v[56:57], s[52:53]
	v_fma_f64 v[42:43], s[20:21], v[50:51], v[100:101]
	v_add_f64 v[42:43], v[42:43], v[98:99]
	v_mul_f64 v[98:99], v[80:81], s[46:47]
	v_fma_f64 v[124:125], v[64:65], s[12:13], -v[98:99]
	v_add_f64 v[40:41], v[124:125], v[40:41]
	v_mul_f64 v[124:125], v[78:79], s[46:47]
	v_fma_f64 v[130:131], s[12:13], v[66:67], v[124:125]
	v_add_f64 v[42:43], v[130:131], v[42:43]
	v_mul_f64 v[130:131], v[96:97], s[44:45]
	;; [unrolled: 6-line block ×5, first 2 shown]
	v_fmac_f64_e32 v[120:121], s[20:21], v[48:49]
	v_fma_f64 v[152:153], v[118:119], s[14:15], -v[150:151]
	v_add_f64 v[22:23], v[120:121], v[22:23]
	v_fma_f64 v[100:101], v[50:51], s[20:21], -v[100:101]
	v_fmac_f64_e32 v[98:99], s[12:13], v[64:65]
	v_add_f64 v[36:37], v[36:37], v[38:39]
	v_fma_f64 v[38:39], s[12:13], v[138:139], v[160:161]
	v_add_f64 v[40:41], v[152:153], v[40:41]
	v_mul_f64 v[152:153], v[126:127], s[30:31]
	v_add_f64 v[20:21], v[100:101], v[20:21]
	v_add_f64 v[22:23], v[98:99], v[22:23]
	v_fma_f64 v[98:99], v[66:67], s[12:13], -v[124:125]
	v_fmac_f64_e32 v[130:131], s[4:5], v[86:87]
	v_add_f64 v[38:39], v[38:39], v[154:155]
	v_fma_f64 v[154:155], s[14:15], v[122:123], v[152:153]
	v_add_f64 v[20:21], v[98:99], v[20:21]
	v_add_f64 v[22:23], v[130:131], v[22:23]
	v_fma_f64 v[98:99], v[88:89], s[4:5], -v[132:133]
	v_fmac_f64_e32 v[134:135], s[28:29], v[102:103]
	v_add_f64 v[42:43], v[154:155], v[42:43]
	v_mul_f64 v[154:155], v[144:145], s[24:25]
	v_add_f64 v[20:21], v[98:99], v[20:21]
	v_add_f64 v[22:23], v[134:135], v[22:23]
	v_fma_f64 v[98:99], v[104:105], s[28:29], -v[136:137]
	v_fmac_f64_e32 v[146:147], s[2:3], v[110:111]
	v_fma_f64 v[156:157], v[140:141], s[18:19], -v[154:155]
	v_add_f64 v[20:21], v[98:99], v[20:21]
	v_add_f64 v[22:23], v[146:147], v[22:23]
	v_fma_f64 v[98:99], v[112:113], s[2:3], -v[148:149]
	v_fmac_f64_e32 v[150:151], s[14:15], v[118:119]
	v_add_f64 v[40:41], v[156:157], v[40:41]
	v_mul_f64 v[156:157], v[142:143], s[24:25]
	v_add_f64 v[20:21], v[98:99], v[20:21]
	v_add_f64 v[22:23], v[150:151], v[22:23]
	v_fma_f64 v[98:99], v[122:123], s[14:15], -v[152:153]
	v_fmac_f64_e32 v[154:155], s[18:19], v[140:141]
	v_add_f64 v[98:99], v[98:99], v[20:21]
	v_add_f64 v[20:21], v[154:155], v[22:23]
	v_fma_f64 v[22:23], v[138:139], s[18:19], -v[156:157]
	v_add_f64 v[22:23], v[22:23], v[98:99]
	v_mul_f64 v[98:99], v[58:59], s[48:49]
	v_fma_f64 v[100:101], v[48:49], s[16:17], -v[98:99]
	v_add_f64 v[92:93], v[100:101], v[92:93]
	v_mul_f64 v[100:101], v[56:57], s[48:49]
	v_fma_f64 v[120:121], s[16:17], v[50:51], v[100:101]
	v_add_f64 v[90:91], v[120:121], v[90:91]
	v_mul_f64 v[120:121], v[80:81], s[30:31]
	v_fma_f64 v[124:125], v[64:65], s[14:15], -v[120:121]
	v_add_f64 v[92:93], v[124:125], v[92:93]
	v_mul_f64 v[124:125], v[78:79], s[30:31]
	v_fma_f64 v[130:131], s[14:15], v[66:67], v[124:125]
	v_add_f64 v[90:91], v[130:131], v[90:91]
	v_mul_f64 v[130:131], v[96:97], s[26:27]
	v_fma_f64 v[132:133], v[86:87], s[20:21], -v[130:131]
	v_add_f64 v[92:93], v[132:133], v[92:93]
	v_mul_f64 v[132:133], v[94:95], s[26:27]
	v_fma_f64 v[134:135], s[20:21], v[88:89], v[132:133]
	v_add_f64 v[90:91], v[134:135], v[90:91]
	v_mul_f64 v[134:135], v[108:109], s[50:51]
	v_fma_f64 v[136:137], v[102:103], s[2:3], -v[134:135]
	v_add_f64 v[92:93], v[136:137], v[92:93]
	v_mul_f64 v[136:137], v[106:107], s[50:51]
	v_fma_f64 v[146:147], s[2:3], v[104:105], v[136:137]
	v_add_f64 v[90:91], v[146:147], v[90:91]
	v_mul_f64 v[146:147], v[116:117], s[38:39]
	v_fma_f64 v[148:149], v[110:111], s[12:13], -v[146:147]
	v_add_f64 v[92:93], v[148:149], v[92:93]
	v_mul_f64 v[148:149], v[114:115], s[38:39]
	v_fmac_f64_e32 v[98:99], s[16:17], v[48:49]
	v_fma_f64 v[150:151], s[12:13], v[112:113], v[148:149]
	v_add_f64 v[84:85], v[98:99], v[84:85]
	v_fma_f64 v[98:99], v[50:51], s[16:17], -v[100:101]
	v_fmac_f64_e32 v[120:121], s[14:15], v[64:65]
	v_add_f64 v[90:91], v[150:151], v[90:91]
	v_mul_f64 v[150:151], v[128:129], s[36:37]
	v_add_f64 v[82:83], v[98:99], v[82:83]
	v_add_f64 v[84:85], v[120:121], v[84:85]
	v_fma_f64 v[98:99], v[66:67], s[14:15], -v[124:125]
	v_fmac_f64_e32 v[130:131], s[20:21], v[86:87]
	v_fma_f64 v[152:153], v[118:119], s[28:29], -v[150:151]
	v_add_f64 v[82:83], v[98:99], v[82:83]
	v_add_f64 v[84:85], v[130:131], v[84:85]
	v_fma_f64 v[98:99], v[88:89], s[20:21], -v[132:133]
	v_fmac_f64_e32 v[134:135], s[2:3], v[102:103]
	v_add_f64 v[92:93], v[152:153], v[92:93]
	v_mul_f64 v[152:153], v[126:127], s[36:37]
	v_add_f64 v[82:83], v[98:99], v[82:83]
	v_add_f64 v[84:85], v[134:135], v[84:85]
	v_fma_f64 v[98:99], v[104:105], s[2:3], -v[136:137]
	v_fmac_f64_e32 v[146:147], s[12:13], v[110:111]
	v_fma_f64 v[160:161], s[18:19], v[138:139], v[156:157]
	v_fma_f64 v[154:155], s[28:29], v[122:123], v[152:153]
	v_mul_f64 v[156:157], v[144:145], s[40:41]
	v_add_f64 v[82:83], v[98:99], v[82:83]
	v_add_f64 v[84:85], v[146:147], v[84:85]
	v_fma_f64 v[98:99], v[112:113], s[12:13], -v[148:149]
	v_fmac_f64_e32 v[150:151], s[28:29], v[118:119]
	v_add_f64 v[42:43], v[160:161], v[42:43]
	v_add_f64 v[154:155], v[154:155], v[90:91]
	v_fma_f64 v[90:91], v[140:141], s[4:5], -v[156:157]
	v_mul_f64 v[160:161], v[142:143], s[40:41]
	v_add_f64 v[82:83], v[98:99], v[82:83]
	v_add_f64 v[84:85], v[150:151], v[84:85]
	v_fma_f64 v[98:99], v[122:123], s[28:29], -v[152:153]
	v_fmac_f64_e32 v[156:157], s[4:5], v[140:141]
	v_add_f64 v[98:99], v[98:99], v[82:83]
	v_add_f64 v[82:83], v[156:157], v[84:85]
	v_fma_f64 v[84:85], v[138:139], s[4:5], -v[160:161]
	v_add_f64 v[84:85], v[84:85], v[98:99]
	v_mul_f64 v[98:99], v[58:59], s[40:41]
	v_fma_f64 v[100:101], v[48:49], s[4:5], -v[98:99]
	v_add_f64 v[70:71], v[100:101], v[70:71]
	v_mul_f64 v[100:101], v[56:57], s[40:41]
	v_fma_f64 v[120:121], s[4:5], v[50:51], v[100:101]
	v_add_f64 v[68:69], v[120:121], v[68:69]
	v_mul_f64 v[120:121], v[80:81], s[34:35]
	v_fma_f64 v[124:125], v[64:65], s[2:3], -v[120:121]
	v_add_f64 v[70:71], v[124:125], v[70:71]
	v_mul_f64 v[124:125], v[78:79], s[34:35]
	v_fma_f64 v[130:131], s[2:3], v[66:67], v[124:125]
	;; [unrolled: 6-line block ×4, first 2 shown]
	v_add_f64 v[68:69], v[146:147], v[68:69]
	v_mul_f64 v[146:147], v[116:117], s[36:37]
	v_fma_f64 v[148:149], v[110:111], s[28:29], -v[146:147]
	v_add_f64 v[70:71], v[148:149], v[70:71]
	v_mul_f64 v[148:149], v[114:115], s[36:37]
	v_fmac_f64_e32 v[98:99], s[4:5], v[48:49]
	v_fma_f64 v[150:151], s[28:29], v[112:113], v[148:149]
	v_add_f64 v[62:63], v[98:99], v[62:63]
	v_fma_f64 v[98:99], v[50:51], s[4:5], -v[100:101]
	v_fmac_f64_e32 v[120:121], s[2:3], v[64:65]
	v_add_f64 v[68:69], v[150:151], v[68:69]
	v_mul_f64 v[150:151], v[128:129], s[46:47]
	v_add_f64 v[60:61], v[98:99], v[60:61]
	v_add_f64 v[62:63], v[120:121], v[62:63]
	v_fma_f64 v[98:99], v[66:67], s[2:3], -v[124:125]
	v_fmac_f64_e32 v[130:131], s[18:19], v[86:87]
	v_fma_f64 v[152:153], v[118:119], s[12:13], -v[150:151]
	v_add_f64 v[60:61], v[98:99], v[60:61]
	v_add_f64 v[62:63], v[130:131], v[62:63]
	v_fma_f64 v[98:99], v[88:89], s[18:19], -v[132:133]
	v_fmac_f64_e32 v[134:135], s[14:15], v[102:103]
	v_add_f64 v[90:91], v[90:91], v[92:93]
	v_fma_f64 v[92:93], s[4:5], v[138:139], v[160:161]
	v_add_f64 v[70:71], v[152:153], v[70:71]
	v_mul_f64 v[152:153], v[126:127], s[46:47]
	v_add_f64 v[60:61], v[98:99], v[60:61]
	v_add_f64 v[62:63], v[134:135], v[62:63]
	v_fma_f64 v[98:99], v[104:105], s[14:15], -v[136:137]
	v_fmac_f64_e32 v[146:147], s[28:29], v[110:111]
	v_add_f64 v[92:93], v[92:93], v[154:155]
	v_fma_f64 v[154:155], s[12:13], v[122:123], v[152:153]
	v_mul_f64 v[156:157], v[144:145], s[22:23]
	v_add_f64 v[60:61], v[98:99], v[60:61]
	v_add_f64 v[62:63], v[146:147], v[62:63]
	v_fma_f64 v[98:99], v[112:113], s[28:29], -v[148:149]
	v_fmac_f64_e32 v[150:151], s[12:13], v[118:119]
	v_add_f64 v[154:155], v[154:155], v[68:69]
	v_fma_f64 v[68:69], v[140:141], s[16:17], -v[156:157]
	v_mul_f64 v[160:161], v[142:143], s[22:23]
	v_add_f64 v[60:61], v[98:99], v[60:61]
	v_add_f64 v[62:63], v[150:151], v[62:63]
	v_fma_f64 v[98:99], v[122:123], s[12:13], -v[152:153]
	v_fmac_f64_e32 v[156:157], s[16:17], v[140:141]
	v_add_f64 v[98:99], v[98:99], v[60:61]
	v_add_f64 v[60:61], v[156:157], v[62:63]
	v_fma_f64 v[62:63], v[138:139], s[16:17], -v[160:161]
	v_mul_f64 v[58:59], v[58:59], s[42:43]
	v_add_f64 v[62:63], v[62:63], v[98:99]
	v_fma_f64 v[98:99], v[48:49], s[14:15], -v[58:59]
	v_mul_f64 v[56:57], v[56:57], s[42:43]
	v_add_f64 v[54:55], v[98:99], v[54:55]
	v_fma_f64 v[98:99], s[14:15], v[50:51], v[56:57]
	v_mul_f64 v[80:81], v[80:81], s[26:27]
	v_add_f64 v[52:53], v[98:99], v[52:53]
	v_fma_f64 v[98:99], v[64:65], s[20:21], -v[80:81]
	v_mul_f64 v[78:79], v[78:79], s[26:27]
	v_add_f64 v[54:55], v[98:99], v[54:55]
	v_fma_f64 v[98:99], s[20:21], v[66:67], v[78:79]
	;; [unrolled: 6-line block ×3, first 2 shown]
	v_add_f64 v[52:53], v[98:99], v[52:53]
	v_mul_f64 v[98:99], v[108:109], s[24:25]
	v_fma_f64 v[100:101], v[102:103], s[18:19], -v[98:99]
	v_add_f64 v[54:55], v[100:101], v[54:55]
	v_mul_f64 v[100:101], v[106:107], s[24:25]
	v_fma_f64 v[106:107], s[18:19], v[104:105], v[100:101]
	v_add_f64 v[52:53], v[106:107], v[52:53]
	v_mul_f64 v[106:107], v[116:117], s[40:41]
	v_fma_f64 v[108:109], v[110:111], s[4:5], -v[106:107]
	v_add_f64 v[54:55], v[108:109], v[54:55]
	v_mul_f64 v[108:109], v[114:115], s[40:41]
	v_fmac_f64_e32 v[58:59], s[14:15], v[48:49]
	v_fma_f64 v[48:49], v[50:51], s[14:15], -v[56:57]
	v_fma_f64 v[114:115], s[4:5], v[112:113], v[108:109]
	v_add_f64 v[46:47], v[58:59], v[46:47]
	v_add_f64 v[44:45], v[48:49], v[44:45]
	v_fmac_f64_e32 v[80:81], s[20:21], v[64:65]
	v_fma_f64 v[48:49], v[66:67], s[20:21], -v[78:79]
	v_add_f64 v[52:53], v[114:115], v[52:53]
	v_mul_f64 v[114:115], v[128:129], s[22:23]
	v_add_f64 v[46:47], v[80:81], v[46:47]
	v_add_f64 v[44:45], v[48:49], v[44:45]
	v_fmac_f64_e32 v[96:97], s[12:13], v[86:87]
	v_fma_f64 v[48:49], v[88:89], s[12:13], -v[94:95]
	v_fma_f64 v[116:117], v[118:119], s[16:17], -v[114:115]
	v_add_f64 v[46:47], v[96:97], v[46:47]
	v_add_f64 v[44:45], v[48:49], v[44:45]
	v_fmac_f64_e32 v[98:99], s[18:19], v[102:103]
	v_fma_f64 v[48:49], v[104:105], s[18:19], -v[100:101]
	v_add_f64 v[54:55], v[116:117], v[54:55]
	v_mul_f64 v[116:117], v[126:127], s[22:23]
	v_add_f64 v[46:47], v[98:99], v[46:47]
	v_add_f64 v[44:45], v[48:49], v[44:45]
	v_fmac_f64_e32 v[106:107], s[4:5], v[110:111]
	v_fma_f64 v[48:49], v[112:113], s[4:5], -v[108:109]
	v_fma_f64 v[120:121], s[16:17], v[122:123], v[116:117]
	v_mul_f64 v[124:125], v[144:145], s[50:51]
	v_mul_f64 v[126:127], v[142:143], s[50:51]
	v_add_f64 v[46:47], v[106:107], v[46:47]
	v_add_f64 v[44:45], v[48:49], v[44:45]
	v_fmac_f64_e32 v[114:115], s[16:17], v[118:119]
	v_fma_f64 v[48:49], v[122:123], s[16:17], -v[116:117]
	v_add_f64 v[120:121], v[120:121], v[52:53]
	v_fma_f64 v[52:53], v[140:141], s[2:3], -v[124:125]
	v_add_f64 v[46:47], v[114:115], v[46:47]
	v_add_f64 v[48:49], v[48:49], v[44:45]
	v_fmac_f64_e32 v[124:125], s[2:3], v[140:141]
	v_fma_f64 v[50:51], v[138:139], s[2:3], -v[126:127]
	v_add_f64 v[44:45], v[124:125], v[46:47]
	v_add_f64 v[46:47], v[50:51], v[48:49]
	v_mov_b32_e32 v48, 4
	v_add_f64 v[68:69], v[68:69], v[70:71]
	v_fma_f64 v[70:71], s[16:17], v[138:139], v[160:161]
	v_add_f64 v[52:53], v[52:53], v[54:55]
	v_fma_f64 v[54:55], s[2:3], v[138:139], v[126:127]
	v_lshlrev_b32_sdwa v48, v48, v159 dst_sel:DWORD dst_unused:UNUSED_PAD src0_sel:DWORD src1_sel:BYTE_0
	v_mul_u32_u24_e32 v49, 0x1210, v75
	v_add_f64 v[70:71], v[70:71], v[154:155]
	v_add_f64 v[54:55], v[54:55], v[120:121]
	v_add3_u32 v48, 0, v49, v48
	s_barrier
	ds_write_b128 v48, v[8:11]
	ds_write_b128 v48, v[24:27] offset:272
	ds_write_b128 v48, v[28:31] offset:544
	;; [unrolled: 1-line block ×16, first 2 shown]
	s_waitcnt lgkmcnt(0)
	s_barrier
	ds_read_b128 v[28:31], v158
	ds_read_b128 v[24:27], v158 offset:1632
	ds_read_b128 v[52:55], v158 offset:4624
	ds_read_b128 v[32:35], v158 offset:6256
	ds_read_b128 v[56:59], v158 offset:9248
	ds_read_b128 v[36:39], v158 offset:10880
	ds_read_b128 v[60:63], v158 offset:13872
	ds_read_b128 v[40:43], v158 offset:15504
	ds_read_b128 v[64:67], v158 offset:18496
	ds_read_b128 v[44:47], v158 offset:20128
	ds_read_b128 v[68:71], v158 offset:23120
	ds_read_b128 v[48:51], v158 offset:24752
	s_movk_i32 s2, 0x55
	v_cmp_gt_u32_e32 vcc, s2, v74
                                        ; implicit-def: $vgpr10_vgpr11
	s_and_saveexec_b64 s[2:3], vcc
	s_cbranch_execz .LBB0_23
; %bb.22:
	ds_read_b128 v[20:23], v158 offset:3264
	ds_read_b128 v[16:19], v158 offset:7888
	;; [unrolled: 1-line block ×6, first 2 shown]
.LBB0_23:
	s_or_b64 exec, exec, s[2:3]
	v_mul_u32_u24_e32 v75, 5, v74
	v_lshlrev_b32_e32 v78, 4, v75
	v_mov_b32_e32 v79, 0
	v_lshl_add_u64 v[104:105], s[8:9], 0, v[78:79]
	s_movk_i32 s2, 0x1000
	v_add_co_u32_e64 v102, s[2:3], s2, v104
	s_mov_b64 s[12:13], 0x1100
	s_nop 0
	v_addc_co_u32_e64 v103, s[2:3], 0, v105, s[2:3]
	s_movk_i32 s2, 0x3000
	s_nop 0
	v_add_co_u32_e64 v120, s[2:3], s2, v104
	v_lshl_add_u64 v[100:101], v[104:105], 0, s[12:13]
	s_nop 0
	v_addc_co_u32_e64 v121, s[2:3], 0, v105, s[2:3]
	global_load_dwordx4 v[80:83], v[102:103], off offset:256
	global_load_dwordx4 v[84:87], v[100:101], off offset:48
	;; [unrolled: 1-line block ×5, first 2 shown]
	s_mov_b64 s[4:5], 0x30e0
	global_load_dwordx4 v[100:103], v[120:121], off offset:224
	v_lshl_add_u64 v[122:123], v[104:105], 0, s[4:5]
	global_load_dwordx4 v[104:107], v[122:123], off offset:16
	global_load_dwordx4 v[108:111], v[122:123], off offset:32
	;; [unrolled: 1-line block ×4, first 2 shown]
	s_mov_b32 s2, 0xe8584caa
	s_mov_b32 s3, 0x3febb67a
	;; [unrolled: 1-line block ×4, first 2 shown]
	s_waitcnt lgkmcnt(0)
	s_barrier
	s_waitcnt vmcnt(9)
	v_mul_f64 v[120:121], v[54:55], v[82:83]
	v_mul_f64 v[82:83], v[52:53], v[82:83]
	s_waitcnt vmcnt(7)
	v_mul_f64 v[124:125], v[62:63], v[90:91]
	s_waitcnt vmcnt(6)
	v_mul_f64 v[122:123], v[58:59], v[94:95]
	v_mul_f64 v[94:95], v[56:57], v[94:95]
	;; [unrolled: 1-line block ×4, first 2 shown]
	s_waitcnt vmcnt(5)
	v_mul_f64 v[128:129], v[70:71], v[98:99]
	s_waitcnt vmcnt(4)
	v_mul_f64 v[130:131], v[34:35], v[102:103]
	v_fmac_f64_e32 v[82:83], v[54:55], v[80:81]
	v_fma_f64 v[54:55], v[56:57], v[92:93], -v[122:123]
	v_mul_f64 v[98:99], v[68:69], v[98:99]
	v_mul_f64 v[102:103], v[32:33], v[102:103]
	s_waitcnt vmcnt(1)
	v_mul_f64 v[136:137], v[46:47], v[114:115]
	v_mul_f64 v[114:115], v[44:45], v[114:115]
	v_fmac_f64_e32 v[94:95], v[58:59], v[92:93]
	v_fma_f64 v[56:57], v[60:61], v[88:89], -v[124:125]
	v_fmac_f64_e32 v[90:91], v[62:63], v[88:89]
	v_fma_f64 v[58:59], v[64:65], v[84:85], -v[126:127]
	v_fma_f64 v[60:61], v[68:69], v[96:97], -v[128:129]
	;; [unrolled: 1-line block ×3, first 2 shown]
	v_add_f64 v[32:33], v[28:29], v[54:55]
	v_mul_f64 v[86:87], v[64:65], v[86:87]
	v_mul_f64 v[132:133], v[38:39], v[106:107]
	;; [unrolled: 1-line block ×3, first 2 shown]
	v_fma_f64 v[52:53], v[52:53], v[80:81], -v[120:121]
	v_fmac_f64_e32 v[98:99], v[70:71], v[96:97]
	v_fmac_f64_e32 v[114:115], v[46:47], v[112:113]
	v_add_f64 v[46:47], v[32:33], v[58:59]
	v_add_f64 v[32:33], v[56:57], v[60:61]
	s_waitcnt vmcnt(0)
	v_mul_f64 v[138:139], v[50:51], v[118:119]
	v_mul_f64 v[118:119], v[48:49], v[118:119]
	v_fmac_f64_e32 v[86:87], v[66:67], v[84:85]
	v_fmac_f64_e32 v[106:107], v[38:39], v[104:105]
	v_fma_f64 v[68:69], v[44:45], v[112:113], -v[136:137]
	v_add_f64 v[38:39], v[30:31], v[94:95]
	v_add_f64 v[44:45], v[52:53], v[56:57]
	v_fmac_f64_e32 v[52:53], -0.5, v[32:33]
	v_add_f64 v[32:33], v[90:91], -v[98:99]
	v_mul_f64 v[134:135], v[42:43], v[110:111]
	v_mul_f64 v[110:111], v[40:41], v[110:111]
	v_fmac_f64_e32 v[118:119], v[50:51], v[116:117]
	v_add_f64 v[50:51], v[38:39], v[86:87]
	v_fma_f64 v[38:39], s[2:3], v[32:33], v[52:53]
	v_fmac_f64_e32 v[52:53], s[4:5], v[32:33]
	v_add_f64 v[32:33], v[82:83], v[90:91]
	v_fmac_f64_e32 v[102:103], v[34:35], v[100:101]
	v_fma_f64 v[66:67], v[40:41], v[108:109], -v[134:135]
	v_fmac_f64_e32 v[110:111], v[42:43], v[108:109]
	v_add_f64 v[34:35], v[54:55], v[58:59]
	v_add_f64 v[40:41], v[94:95], v[86:87]
	v_add_f64 v[42:43], v[54:55], -v[58:59]
	v_add_f64 v[58:59], v[32:33], v[98:99]
	v_add_f64 v[32:33], v[90:91], v[98:99]
	v_fmac_f64_e32 v[30:31], -0.5, v[40:41]
	v_fmac_f64_e32 v[82:83], -0.5, v[32:33]
	v_add_f64 v[32:33], v[56:57], -v[60:61]
	v_fma_f64 v[54:55], s[4:5], v[42:43], v[30:31]
	v_fmac_f64_e32 v[30:31], s[2:3], v[42:43]
	v_add_f64 v[44:45], v[44:45], v[60:61]
	v_fma_f64 v[42:43], s[4:5], v[32:33], v[82:83]
	v_fmac_f64_e32 v[82:83], s[2:3], v[32:33]
	v_mul_f64 v[60:61], v[52:53], -0.5
	v_fma_f64 v[64:65], v[36:37], v[104:105], -v[132:133]
	v_fmac_f64_e32 v[60:61], s[2:3], v[82:83]
	v_mul_f64 v[80:81], v[38:39], s[4:5]
	v_mul_f64 v[82:83], v[82:83], -0.5
	v_mul_f64 v[56:57], v[42:43], s[2:3]
	v_fmac_f64_e32 v[80:81], 0.5, v[42:43]
	v_fmac_f64_e32 v[82:83], s[4:5], v[52:53]
	v_add_f64 v[52:53], v[24:25], v[64:65]
	v_fmac_f64_e32 v[28:29], -0.5, v[34:35]
	v_add_f64 v[32:33], v[46:47], v[44:45]
	v_fmac_f64_e32 v[56:57], 0.5, v[38:39]
	v_add_f64 v[34:35], v[50:51], v[58:59]
	v_add_f64 v[38:39], v[54:55], v[80:81]
	v_add_f64 v[44:45], v[46:47], -v[44:45]
	v_add_f64 v[46:47], v[50:51], -v[58:59]
	;; [unrolled: 1-line block ×3, first 2 shown]
	v_add_f64 v[80:81], v[52:53], v[68:69]
	v_add_f64 v[52:53], v[64:65], v[68:69]
	v_fmac_f64_e32 v[24:25], -0.5, v[52:53]
	v_add_f64 v[52:53], v[106:107], -v[114:115]
	v_add_f64 v[42:43], v[30:31], v[82:83]
	v_add_f64 v[30:31], v[30:31], -v[82:83]
	v_fma_f64 v[82:83], s[2:3], v[52:53], v[24:25]
	v_fmac_f64_e32 v[24:25], s[4:5], v[52:53]
	v_add_f64 v[52:53], v[26:27], v[106:107]
	v_add_f64 v[84:85], v[52:53], v[114:115]
	v_add_f64 v[52:53], v[106:107], v[114:115]
	v_fmac_f64_e32 v[26:27], -0.5, v[52:53]
	v_add_f64 v[52:53], v[64:65], -v[68:69]
	v_fma_f64 v[70:71], v[48:49], v[116:117], -v[138:139]
	v_add_f64 v[36:37], v[94:95], -v[86:87]
	v_fma_f64 v[86:87], s[4:5], v[52:53], v[26:27]
	v_fmac_f64_e32 v[26:27], s[2:3], v[52:53]
	v_add_f64 v[52:53], v[62:63], v[66:67]
	v_add_f64 v[64:65], v[52:53], v[70:71]
	;; [unrolled: 1-line block ×3, first 2 shown]
	v_fmac_f64_e32 v[62:63], -0.5, v[52:53]
	v_add_f64 v[52:53], v[110:111], -v[118:119]
	v_fma_f64 v[58:59], s[2:3], v[52:53], v[62:63]
	v_fmac_f64_e32 v[62:63], s[4:5], v[52:53]
	v_add_f64 v[52:53], v[102:103], v[110:111]
	v_add_f64 v[88:89], v[52:53], v[118:119]
	;; [unrolled: 1-line block ×3, first 2 shown]
	v_fmac_f64_e32 v[102:103], -0.5, v[52:53]
	v_add_f64 v[52:53], v[66:67], -v[70:71]
	v_fma_f64 v[66:67], s[4:5], v[52:53], v[102:103]
	v_fmac_f64_e32 v[102:103], s[2:3], v[52:53]
	v_mul_f64 v[68:69], v[66:67], s[2:3]
	v_mul_f64 v[70:71], v[62:63], -0.5
	v_mul_f64 v[90:91], v[58:59], s[4:5]
	v_mul_f64 v[92:93], v[102:103], -0.5
	v_fma_f64 v[48:49], s[2:3], v[36:37], v[28:29]
	v_fmac_f64_e32 v[28:29], s[4:5], v[36:37]
	v_fmac_f64_e32 v[68:69], 0.5, v[58:59]
	v_fmac_f64_e32 v[70:71], s[2:3], v[102:103]
	v_fmac_f64_e32 v[90:91], 0.5, v[66:67]
	v_fmac_f64_e32 v[92:93], s[4:5], v[62:63]
	v_add_f64 v[36:37], v[48:49], v[56:57]
	v_add_f64 v[40:41], v[28:29], v[60:61]
	v_add_f64 v[48:49], v[48:49], -v[56:57]
	v_add_f64 v[28:29], v[28:29], -v[60:61]
	v_add_f64 v[52:53], v[80:81], v[64:65]
	v_add_f64 v[56:57], v[82:83], v[68:69]
	;; [unrolled: 1-line block ×6, first 2 shown]
	v_add_f64 v[64:65], v[80:81], -v[64:65]
	v_add_f64 v[68:69], v[82:83], -v[68:69]
	;; [unrolled: 1-line block ×6, first 2 shown]
	ds_write_b128 v158, v[32:35]
	ds_write_b128 v158, v[36:39] offset:4624
	ds_write_b128 v158, v[40:43] offset:9248
	ds_write_b128 v158, v[44:47] offset:13872
	ds_write_b128 v158, v[48:51] offset:18496
	ds_write_b128 v158, v[28:31] offset:23120
	ds_write_b128 v158, v[52:55] offset:1632
	ds_write_b128 v158, v[56:59] offset:6256
	ds_write_b128 v158, v[60:63] offset:10880
	ds_write_b128 v158, v[64:67] offset:15504
	ds_write_b128 v158, v[68:71] offset:20128
	ds_write_b128 v158, v[24:27] offset:24752
	s_and_saveexec_b64 s[14:15], vcc
	s_cbranch_execz .LBB0_25
; %bb.24:
	v_add_u32_e32 v24, 0xcc, v74
	v_add_u32_e32 v25, 0xffffffab, v74
	v_cndmask_b32_e32 v24, v25, v24, vcc
	v_mul_i32_i24_e32 v78, 5, v24
	v_lshl_add_u64 v[36:37], v[78:79], 4, s[8:9]
	v_lshl_add_u64 v[32:33], v[36:37], 0, s[12:13]
	v_add_co_u32_e32 v44, vcc, 0x1000, v36
	global_load_dwordx4 v[24:27], v[32:33], off offset:16
	global_load_dwordx4 v[28:31], v[32:33], off offset:32
	v_addc_co_u32_e32 v45, vcc, 0, v37, vcc
	global_load_dwordx4 v[32:35], v[32:33], off offset:48
	s_nop 0
	global_load_dwordx4 v[36:39], v[44:45], off offset:256
	global_load_dwordx4 v[40:43], v[44:45], off offset:320
	s_waitcnt vmcnt(4)
	v_mul_f64 v[44:45], v[14:15], v[26:27]
	v_mul_f64 v[26:27], v[12:13], v[26:27]
	s_waitcnt vmcnt(3)
	v_mul_f64 v[46:47], v[6:7], v[30:31]
	v_mul_f64 v[30:31], v[4:5], v[30:31]
	v_fma_f64 v[12:13], v[12:13], v[24:25], -v[44:45]
	s_waitcnt vmcnt(2)
	v_mul_f64 v[44:45], v[2:3], v[34:35]
	v_fmac_f64_e32 v[26:27], v[14:15], v[24:25]
	v_mul_f64 v[14:15], v[0:1], v[34:35]
	s_waitcnt vmcnt(0)
	v_mul_f64 v[34:35], v[10:11], v[42:43]
	v_fmac_f64_e32 v[30:31], v[6:7], v[28:29]
	v_mul_f64 v[6:7], v[8:9], v[42:43]
	v_mul_f64 v[24:25], v[18:19], v[38:39]
	v_fma_f64 v[4:5], v[4:5], v[28:29], -v[46:47]
	v_mul_f64 v[28:29], v[16:17], v[38:39]
	v_fmac_f64_e32 v[14:15], v[2:3], v[32:33]
	v_fma_f64 v[8:9], v[8:9], v[40:41], -v[34:35]
	v_fmac_f64_e32 v[6:7], v[10:11], v[40:41]
	v_fma_f64 v[0:1], v[0:1], v[32:33], -v[44:45]
	v_fma_f64 v[2:3], v[16:17], v[36:37], -v[24:25]
	v_fmac_f64_e32 v[28:29], v[18:19], v[36:37]
	v_add_f64 v[10:11], v[22:23], v[26:27]
	v_add_f64 v[24:25], v[26:27], v[14:15]
	;; [unrolled: 1-line block ×5, first 2 shown]
	v_add_f64 v[18:19], v[12:13], -v[0:1]
	v_add_f64 v[34:35], v[30:31], -v[6:7]
	;; [unrolled: 1-line block ×3, first 2 shown]
	v_add_f64 v[10:11], v[10:11], v[14:15]
	v_add_f64 v[30:31], v[28:29], v[30:31]
	;; [unrolled: 1-line block ×3, first 2 shown]
	v_add_f64 v[14:15], v[26:27], -v[14:15]
	v_fma_f64 v[22:23], -0.5, v[24:25], v[22:23]
	v_fma_f64 v[24:25], -0.5, v[32:33], v[2:3]
	;; [unrolled: 1-line block ×3, first 2 shown]
	v_add_f64 v[16:17], v[16:17], v[0:1]
	v_add_f64 v[0:1], v[2:3], v[4:5]
	;; [unrolled: 1-line block ×3, first 2 shown]
	v_fma_f64 v[12:13], -0.5, v[12:13], v[20:21]
	v_fma_f64 v[28:29], s[4:5], v[34:35], v[24:25]
	v_fma_f64 v[30:31], s[2:3], v[36:37], v[26:27]
	v_fmac_f64_e32 v[26:27], s[4:5], v[36:37]
	v_fmac_f64_e32 v[24:25], s[2:3], v[34:35]
	v_add_f64 v[8:9], v[0:1], v[8:9]
	v_fma_f64 v[20:21], s[2:3], v[18:19], v[22:23]
	v_fmac_f64_e32 v[22:23], s[4:5], v[18:19]
	v_fma_f64 v[18:19], s[4:5], v[14:15], v[12:13]
	v_fmac_f64_e32 v[12:13], s[2:3], v[14:15]
	v_mul_f64 v[14:15], v[24:25], s[4:5]
	v_mul_f64 v[32:33], v[26:27], s[2:3]
	v_add_f64 v[2:3], v[10:11], -v[4:5]
	v_add_f64 v[0:1], v[16:17], -v[8:9]
	v_add_f64 v[6:7], v[10:11], v[4:5]
	v_add_f64 v[4:5], v[16:17], v[8:9]
	v_mul_f64 v[8:9], v[30:31], -0.5
	v_mul_f64 v[16:17], v[28:29], -0.5
	v_fmac_f64_e32 v[14:15], 0.5, v[26:27]
	v_fmac_f64_e32 v[32:33], 0.5, v[24:25]
	ds_write_b128 v158, v[4:7] offset:3264
	ds_write_b128 v158, v[0:3] offset:17136
	v_fmac_f64_e32 v[8:9], s[4:5], v[28:29]
	v_fmac_f64_e32 v[16:17], s[2:3], v[30:31]
	v_add_f64 v[6:7], v[22:23], -v[14:15]
	v_add_f64 v[4:5], v[12:13], -v[32:33]
	v_add_f64 v[14:15], v[22:23], v[14:15]
	v_add_f64 v[12:13], v[12:13], v[32:33]
	v_add_f64 v[2:3], v[20:21], -v[8:9]
	v_add_f64 v[0:1], v[18:19], -v[16:17]
	v_add_f64 v[10:11], v[20:21], v[8:9]
	v_add_f64 v[8:9], v[18:19], v[16:17]
	ds_write_b128 v158, v[12:15] offset:7888
	ds_write_b128 v158, v[8:11] offset:12512
	;; [unrolled: 1-line block ×4, first 2 shown]
.LBB0_25:
	s_or_b64 exec, exec, s[14:15]
	s_waitcnt lgkmcnt(0)
	s_barrier
	s_and_saveexec_b64 s[2:3], s[0:1]
	s_cbranch_execz .LBB0_27
; %bb.26:
	v_mul_lo_u32 v0, s11, v76
	v_mul_lo_u32 v1, s10, v77
	v_mad_u64_u32 v[4:5], s[0:1], s10, v76, 0
	v_lshl_add_u32 v12, v74, 4, 0
	v_add3_u32 v5, v5, v1, v0
	ds_read_b128 v[0:3], v12
	v_lshl_add_u64 v[4:5], v[4:5], 4, s[6:7]
	v_lshl_add_u64 v[8:9], v[72:73], 4, v[4:5]
	ds_read_b128 v[4:7], v12 offset:1632
	v_mov_b32_e32 v75, 0
	v_lshl_add_u64 v[10:11], v[74:75], 4, v[8:9]
	s_waitcnt lgkmcnt(1)
	global_store_dwordx4 v[10:11], v[0:3], off
	s_nop 1
	v_add_u32_e32 v0, 0x66, v74
	v_mov_b32_e32 v1, v75
	v_lshl_add_u64 v[0:1], v[0:1], 4, v[8:9]
	s_waitcnt lgkmcnt(0)
	global_store_dwordx4 v[0:1], v[4:7], off
	ds_read_b128 v[0:3], v12 offset:3264
	s_nop 0
	v_add_u32_e32 v4, 0xcc, v74
	v_mov_b32_e32 v5, v75
	v_lshl_add_u64 v[10:11], v[4:5], 4, v[8:9]
	ds_read_b128 v[4:7], v12 offset:4896
	s_waitcnt lgkmcnt(1)
	global_store_dwordx4 v[10:11], v[0:3], off
	s_nop 1
	v_add_u32_e32 v0, 0x132, v74
	v_mov_b32_e32 v1, v75
	v_lshl_add_u64 v[0:1], v[0:1], 4, v[8:9]
	s_waitcnt lgkmcnt(0)
	global_store_dwordx4 v[0:1], v[4:7], off
	ds_read_b128 v[0:3], v12 offset:6528
	s_nop 0
	v_add_u32_e32 v4, 0x198, v74
	v_mov_b32_e32 v5, v75
	v_lshl_add_u64 v[10:11], v[4:5], 4, v[8:9]
	ds_read_b128 v[4:7], v12 offset:8160
	;; [unrolled: 14-line block ×7, first 2 shown]
	s_waitcnt lgkmcnt(1)
	global_store_dwordx4 v[10:11], v[0:3], off
	ds_read_b128 v[0:3], v12 offset:26112
	v_add_u32_e32 v10, 0x5fa, v74
	v_mov_b32_e32 v11, v75
	v_lshl_add_u64 v[10:11], v[10:11], 4, v[8:9]
	v_add_u32_e32 v74, 0x660, v74
	s_waitcnt lgkmcnt(1)
	global_store_dwordx4 v[10:11], v[4:7], off
	s_nop 1
	v_lshl_add_u64 v[4:5], v[74:75], 4, v[8:9]
	s_waitcnt lgkmcnt(0)
	global_store_dwordx4 v[4:5], v[0:3], off
.LBB0_27:
	s_endpgm
	.section	.rodata,"a",@progbits
	.p2align	6, 0x0
	.amdhsa_kernel fft_rtc_fwd_len1734_factors_17_17_6_wgs_102_tpt_102_halfLds_dp_op_CI_CI_unitstride_sbrr_C2R_dirReg
		.amdhsa_group_segment_fixed_size 0
		.amdhsa_private_segment_fixed_size 0
		.amdhsa_kernarg_size 104
		.amdhsa_user_sgpr_count 2
		.amdhsa_user_sgpr_dispatch_ptr 0
		.amdhsa_user_sgpr_queue_ptr 0
		.amdhsa_user_sgpr_kernarg_segment_ptr 1
		.amdhsa_user_sgpr_dispatch_id 0
		.amdhsa_user_sgpr_kernarg_preload_length 0
		.amdhsa_user_sgpr_kernarg_preload_offset 0
		.amdhsa_user_sgpr_private_segment_size 0
		.amdhsa_uses_dynamic_stack 0
		.amdhsa_enable_private_segment 0
		.amdhsa_system_sgpr_workgroup_id_x 1
		.amdhsa_system_sgpr_workgroup_id_y 0
		.amdhsa_system_sgpr_workgroup_id_z 0
		.amdhsa_system_sgpr_workgroup_info 0
		.amdhsa_system_vgpr_workitem_id 0
		.amdhsa_next_free_vgpr 164
		.amdhsa_next_free_sgpr 58
		.amdhsa_accum_offset 164
		.amdhsa_reserve_vcc 1
		.amdhsa_float_round_mode_32 0
		.amdhsa_float_round_mode_16_64 0
		.amdhsa_float_denorm_mode_32 3
		.amdhsa_float_denorm_mode_16_64 3
		.amdhsa_dx10_clamp 1
		.amdhsa_ieee_mode 1
		.amdhsa_fp16_overflow 0
		.amdhsa_tg_split 0
		.amdhsa_exception_fp_ieee_invalid_op 0
		.amdhsa_exception_fp_denorm_src 0
		.amdhsa_exception_fp_ieee_div_zero 0
		.amdhsa_exception_fp_ieee_overflow 0
		.amdhsa_exception_fp_ieee_underflow 0
		.amdhsa_exception_fp_ieee_inexact 0
		.amdhsa_exception_int_div_zero 0
	.end_amdhsa_kernel
	.text
.Lfunc_end0:
	.size	fft_rtc_fwd_len1734_factors_17_17_6_wgs_102_tpt_102_halfLds_dp_op_CI_CI_unitstride_sbrr_C2R_dirReg, .Lfunc_end0-fft_rtc_fwd_len1734_factors_17_17_6_wgs_102_tpt_102_halfLds_dp_op_CI_CI_unitstride_sbrr_C2R_dirReg
                                        ; -- End function
	.section	.AMDGPU.csdata,"",@progbits
; Kernel info:
; codeLenInByte = 18660
; NumSgprs: 64
; NumVgprs: 164
; NumAgprs: 0
; TotalNumVgprs: 164
; ScratchSize: 0
; MemoryBound: 0
; FloatMode: 240
; IeeeMode: 1
; LDSByteSize: 0 bytes/workgroup (compile time only)
; SGPRBlocks: 7
; VGPRBlocks: 20
; NumSGPRsForWavesPerEU: 64
; NumVGPRsForWavesPerEU: 164
; AccumOffset: 164
; Occupancy: 3
; WaveLimiterHint : 1
; COMPUTE_PGM_RSRC2:SCRATCH_EN: 0
; COMPUTE_PGM_RSRC2:USER_SGPR: 2
; COMPUTE_PGM_RSRC2:TRAP_HANDLER: 0
; COMPUTE_PGM_RSRC2:TGID_X_EN: 1
; COMPUTE_PGM_RSRC2:TGID_Y_EN: 0
; COMPUTE_PGM_RSRC2:TGID_Z_EN: 0
; COMPUTE_PGM_RSRC2:TIDIG_COMP_CNT: 0
; COMPUTE_PGM_RSRC3_GFX90A:ACCUM_OFFSET: 40
; COMPUTE_PGM_RSRC3_GFX90A:TG_SPLIT: 0
	.text
	.p2alignl 6, 3212836864
	.fill 256, 4, 3212836864
	.type	__hip_cuid_f546414a3065d9e3,@object ; @__hip_cuid_f546414a3065d9e3
	.section	.bss,"aw",@nobits
	.globl	__hip_cuid_f546414a3065d9e3
__hip_cuid_f546414a3065d9e3:
	.byte	0                               ; 0x0
	.size	__hip_cuid_f546414a3065d9e3, 1

	.ident	"AMD clang version 19.0.0git (https://github.com/RadeonOpenCompute/llvm-project roc-6.4.0 25133 c7fe45cf4b819c5991fe208aaa96edf142730f1d)"
	.section	".note.GNU-stack","",@progbits
	.addrsig
	.addrsig_sym __hip_cuid_f546414a3065d9e3
	.amdgpu_metadata
---
amdhsa.kernels:
  - .agpr_count:     0
    .args:
      - .actual_access:  read_only
        .address_space:  global
        .offset:         0
        .size:           8
        .value_kind:     global_buffer
      - .offset:         8
        .size:           8
        .value_kind:     by_value
      - .actual_access:  read_only
        .address_space:  global
        .offset:         16
        .size:           8
        .value_kind:     global_buffer
      - .actual_access:  read_only
        .address_space:  global
        .offset:         24
        .size:           8
        .value_kind:     global_buffer
      - .actual_access:  read_only
        .address_space:  global
        .offset:         32
        .size:           8
        .value_kind:     global_buffer
      - .offset:         40
        .size:           8
        .value_kind:     by_value
      - .actual_access:  read_only
        .address_space:  global
        .offset:         48
        .size:           8
        .value_kind:     global_buffer
      - .actual_access:  read_only
        .address_space:  global
        .offset:         56
        .size:           8
        .value_kind:     global_buffer
      - .offset:         64
        .size:           4
        .value_kind:     by_value
      - .actual_access:  read_only
        .address_space:  global
        .offset:         72
        .size:           8
        .value_kind:     global_buffer
      - .actual_access:  read_only
        .address_space:  global
        .offset:         80
        .size:           8
        .value_kind:     global_buffer
      - .actual_access:  read_only
        .address_space:  global
        .offset:         88
        .size:           8
        .value_kind:     global_buffer
      - .actual_access:  write_only
        .address_space:  global
        .offset:         96
        .size:           8
        .value_kind:     global_buffer
    .group_segment_fixed_size: 0
    .kernarg_segment_align: 8
    .kernarg_segment_size: 104
    .language:       OpenCL C
    .language_version:
      - 2
      - 0
    .max_flat_workgroup_size: 102
    .name:           fft_rtc_fwd_len1734_factors_17_17_6_wgs_102_tpt_102_halfLds_dp_op_CI_CI_unitstride_sbrr_C2R_dirReg
    .private_segment_fixed_size: 0
    .sgpr_count:     64
    .sgpr_spill_count: 0
    .symbol:         fft_rtc_fwd_len1734_factors_17_17_6_wgs_102_tpt_102_halfLds_dp_op_CI_CI_unitstride_sbrr_C2R_dirReg.kd
    .uniform_work_group_size: 1
    .uses_dynamic_stack: false
    .vgpr_count:     164
    .vgpr_spill_count: 0
    .wavefront_size: 64
amdhsa.target:   amdgcn-amd-amdhsa--gfx950
amdhsa.version:
  - 1
  - 2
...

	.end_amdgpu_metadata
